;; amdgpu-corpus repo=ROCm/rocFFT kind=compiled arch=gfx906 opt=O3
	.text
	.amdgcn_target "amdgcn-amd-amdhsa--gfx906"
	.amdhsa_code_object_version 6
	.protected	fft_rtc_back_len1008_factors_2_2_2_2_3_3_7_wgs_56_tpt_56_halfLds_dp_op_CI_CI_unitstride_sbrr_dirReg ; -- Begin function fft_rtc_back_len1008_factors_2_2_2_2_3_3_7_wgs_56_tpt_56_halfLds_dp_op_CI_CI_unitstride_sbrr_dirReg
	.globl	fft_rtc_back_len1008_factors_2_2_2_2_3_3_7_wgs_56_tpt_56_halfLds_dp_op_CI_CI_unitstride_sbrr_dirReg
	.p2align	8
	.type	fft_rtc_back_len1008_factors_2_2_2_2_3_3_7_wgs_56_tpt_56_halfLds_dp_op_CI_CI_unitstride_sbrr_dirReg,@function
fft_rtc_back_len1008_factors_2_2_2_2_3_3_7_wgs_56_tpt_56_halfLds_dp_op_CI_CI_unitstride_sbrr_dirReg: ; @fft_rtc_back_len1008_factors_2_2_2_2_3_3_7_wgs_56_tpt_56_halfLds_dp_op_CI_CI_unitstride_sbrr_dirReg
; %bb.0:
	s_load_dwordx4 s[12:15], s[4:5], 0x58
	s_load_dwordx4 s[8:11], s[4:5], 0x0
	;; [unrolled: 1-line block ×3, first 2 shown]
	v_mul_u32_u24_e32 v1, 0x493, v0
	v_add_u32_sdwa v6, s6, v1 dst_sel:DWORD dst_unused:UNUSED_PAD src0_sel:DWORD src1_sel:WORD_1
	v_mov_b32_e32 v1, 0
	s_waitcnt lgkmcnt(0)
	v_cmp_lt_u64_e64 s[0:1], s[10:11], 2
	v_mov_b32_e32 v4, 0
	v_mov_b32_e32 v7, v1
	s_and_b64 vcc, exec, s[0:1]
	v_mov_b32_e32 v5, 0
	s_cbranch_vccnz .LBB0_8
; %bb.1:
	s_load_dwordx2 s[0:1], s[4:5], 0x10
	s_add_u32 s2, s18, 8
	s_addc_u32 s3, s19, 0
	s_add_u32 s6, s16, 8
	v_mov_b32_e32 v4, 0
	s_addc_u32 s7, s17, 0
	v_mov_b32_e32 v5, 0
	s_waitcnt lgkmcnt(0)
	s_add_u32 s20, s0, 8
	v_mov_b32_e32 v101, v5
	s_addc_u32 s21, s1, 0
	s_mov_b64 s[22:23], 1
	v_mov_b32_e32 v100, v4
.LBB0_2:                                ; =>This Inner Loop Header: Depth=1
	s_load_dwordx2 s[24:25], s[20:21], 0x0
                                        ; implicit-def: $vgpr102_vgpr103
	s_waitcnt lgkmcnt(0)
	v_or_b32_e32 v2, s25, v7
	v_cmp_ne_u64_e32 vcc, 0, v[1:2]
	s_and_saveexec_b64 s[0:1], vcc
	s_xor_b64 s[26:27], exec, s[0:1]
	s_cbranch_execz .LBB0_4
; %bb.3:                                ;   in Loop: Header=BB0_2 Depth=1
	v_cvt_f32_u32_e32 v2, s24
	v_cvt_f32_u32_e32 v3, s25
	s_sub_u32 s0, 0, s24
	s_subb_u32 s1, 0, s25
	v_mac_f32_e32 v2, 0x4f800000, v3
	v_rcp_f32_e32 v2, v2
	v_mul_f32_e32 v2, 0x5f7ffffc, v2
	v_mul_f32_e32 v3, 0x2f800000, v2
	v_trunc_f32_e32 v3, v3
	v_mac_f32_e32 v2, 0xcf800000, v3
	v_cvt_u32_f32_e32 v3, v3
	v_cvt_u32_f32_e32 v2, v2
	v_mul_lo_u32 v8, s0, v3
	v_mul_hi_u32 v9, s0, v2
	v_mul_lo_u32 v11, s1, v2
	v_mul_lo_u32 v10, s0, v2
	v_add_u32_e32 v8, v9, v8
	v_add_u32_e32 v8, v8, v11
	v_mul_hi_u32 v9, v2, v10
	v_mul_lo_u32 v11, v2, v8
	v_mul_hi_u32 v13, v2, v8
	v_mul_hi_u32 v12, v3, v10
	v_mul_lo_u32 v10, v3, v10
	v_mul_hi_u32 v14, v3, v8
	v_add_co_u32_e32 v9, vcc, v9, v11
	v_addc_co_u32_e32 v11, vcc, 0, v13, vcc
	v_mul_lo_u32 v8, v3, v8
	v_add_co_u32_e32 v9, vcc, v9, v10
	v_addc_co_u32_e32 v9, vcc, v11, v12, vcc
	v_addc_co_u32_e32 v10, vcc, 0, v14, vcc
	v_add_co_u32_e32 v8, vcc, v9, v8
	v_addc_co_u32_e32 v9, vcc, 0, v10, vcc
	v_add_co_u32_e32 v2, vcc, v2, v8
	v_addc_co_u32_e32 v3, vcc, v3, v9, vcc
	v_mul_lo_u32 v8, s0, v3
	v_mul_hi_u32 v9, s0, v2
	v_mul_lo_u32 v10, s1, v2
	v_mul_lo_u32 v11, s0, v2
	v_add_u32_e32 v8, v9, v8
	v_add_u32_e32 v8, v8, v10
	v_mul_lo_u32 v12, v2, v8
	v_mul_hi_u32 v13, v2, v11
	v_mul_hi_u32 v14, v2, v8
	v_mul_hi_u32 v10, v3, v11
	v_mul_lo_u32 v11, v3, v11
	v_mul_hi_u32 v9, v3, v8
	v_add_co_u32_e32 v12, vcc, v13, v12
	v_addc_co_u32_e32 v13, vcc, 0, v14, vcc
	v_mul_lo_u32 v8, v3, v8
	v_add_co_u32_e32 v11, vcc, v12, v11
	v_addc_co_u32_e32 v10, vcc, v13, v10, vcc
	v_addc_co_u32_e32 v9, vcc, 0, v9, vcc
	v_add_co_u32_e32 v8, vcc, v10, v8
	v_addc_co_u32_e32 v9, vcc, 0, v9, vcc
	v_add_co_u32_e32 v8, vcc, v2, v8
	v_addc_co_u32_e32 v9, vcc, v3, v9, vcc
	v_mad_u64_u32 v[2:3], s[0:1], v6, v9, 0
	v_mul_hi_u32 v10, v6, v8
	v_add_co_u32_e32 v10, vcc, v10, v2
	v_addc_co_u32_e32 v11, vcc, 0, v3, vcc
	v_mad_u64_u32 v[2:3], s[0:1], v7, v8, 0
	v_mad_u64_u32 v[8:9], s[0:1], v7, v9, 0
	v_add_co_u32_e32 v2, vcc, v10, v2
	v_addc_co_u32_e32 v2, vcc, v11, v3, vcc
	v_addc_co_u32_e32 v3, vcc, 0, v9, vcc
	v_add_co_u32_e32 v8, vcc, v2, v8
	v_addc_co_u32_e32 v9, vcc, 0, v3, vcc
	v_mul_lo_u32 v10, s25, v8
	v_mul_lo_u32 v11, s24, v9
	v_mad_u64_u32 v[2:3], s[0:1], s24, v8, 0
	v_add3_u32 v3, v3, v11, v10
	v_sub_u32_e32 v10, v7, v3
	v_mov_b32_e32 v11, s25
	v_sub_co_u32_e32 v2, vcc, v6, v2
	v_subb_co_u32_e64 v10, s[0:1], v10, v11, vcc
	v_subrev_co_u32_e64 v11, s[0:1], s24, v2
	v_subbrev_co_u32_e64 v10, s[0:1], 0, v10, s[0:1]
	v_cmp_le_u32_e64 s[0:1], s25, v10
	v_cndmask_b32_e64 v12, 0, -1, s[0:1]
	v_cmp_le_u32_e64 s[0:1], s24, v11
	v_cndmask_b32_e64 v11, 0, -1, s[0:1]
	v_cmp_eq_u32_e64 s[0:1], s25, v10
	v_cndmask_b32_e64 v10, v12, v11, s[0:1]
	v_add_co_u32_e64 v11, s[0:1], 2, v8
	v_addc_co_u32_e64 v12, s[0:1], 0, v9, s[0:1]
	v_add_co_u32_e64 v13, s[0:1], 1, v8
	v_addc_co_u32_e64 v14, s[0:1], 0, v9, s[0:1]
	v_subb_co_u32_e32 v3, vcc, v7, v3, vcc
	v_cmp_ne_u32_e64 s[0:1], 0, v10
	v_cmp_le_u32_e32 vcc, s25, v3
	v_cndmask_b32_e64 v10, v14, v12, s[0:1]
	v_cndmask_b32_e64 v12, 0, -1, vcc
	v_cmp_le_u32_e32 vcc, s24, v2
	v_cndmask_b32_e64 v2, 0, -1, vcc
	v_cmp_eq_u32_e32 vcc, s25, v3
	v_cndmask_b32_e32 v2, v12, v2, vcc
	v_cmp_ne_u32_e32 vcc, 0, v2
	v_cndmask_b32_e64 v2, v13, v11, s[0:1]
	v_cndmask_b32_e32 v103, v9, v10, vcc
	v_cndmask_b32_e32 v102, v8, v2, vcc
.LBB0_4:                                ;   in Loop: Header=BB0_2 Depth=1
	s_andn2_saveexec_b64 s[0:1], s[26:27]
	s_cbranch_execz .LBB0_6
; %bb.5:                                ;   in Loop: Header=BB0_2 Depth=1
	v_cvt_f32_u32_e32 v2, s24
	s_sub_i32 s26, 0, s24
	v_mov_b32_e32 v103, v1
	v_rcp_iflag_f32_e32 v2, v2
	v_mul_f32_e32 v2, 0x4f7ffffe, v2
	v_cvt_u32_f32_e32 v2, v2
	v_mul_lo_u32 v3, s26, v2
	v_mul_hi_u32 v3, v2, v3
	v_add_u32_e32 v2, v2, v3
	v_mul_hi_u32 v2, v6, v2
	v_mul_lo_u32 v3, v2, s24
	v_add_u32_e32 v8, 1, v2
	v_sub_u32_e32 v3, v6, v3
	v_subrev_u32_e32 v9, s24, v3
	v_cmp_le_u32_e32 vcc, s24, v3
	v_cndmask_b32_e32 v3, v3, v9, vcc
	v_cndmask_b32_e32 v2, v2, v8, vcc
	v_add_u32_e32 v8, 1, v2
	v_cmp_le_u32_e32 vcc, s24, v3
	v_cndmask_b32_e32 v102, v2, v8, vcc
.LBB0_6:                                ;   in Loop: Header=BB0_2 Depth=1
	s_or_b64 exec, exec, s[0:1]
	v_mul_lo_u32 v8, v103, s24
	v_mul_lo_u32 v9, v102, s25
	v_mad_u64_u32 v[2:3], s[0:1], v102, s24, 0
	s_load_dwordx2 s[0:1], s[6:7], 0x0
	s_load_dwordx2 s[24:25], s[2:3], 0x0
	v_add3_u32 v3, v3, v9, v8
	v_sub_co_u32_e32 v2, vcc, v6, v2
	v_subb_co_u32_e32 v3, vcc, v7, v3, vcc
	s_waitcnt lgkmcnt(0)
	v_mul_lo_u32 v6, s0, v3
	v_mul_lo_u32 v7, s1, v2
	v_mad_u64_u32 v[4:5], s[0:1], s0, v2, v[4:5]
	v_mul_lo_u32 v3, s24, v3
	v_mul_lo_u32 v8, s25, v2
	v_mad_u64_u32 v[100:101], s[0:1], s24, v2, v[100:101]
	s_add_u32 s22, s22, 1
	s_addc_u32 s23, s23, 0
	s_add_u32 s2, s2, 8
	v_add3_u32 v101, v8, v101, v3
	s_addc_u32 s3, s3, 0
	v_mov_b32_e32 v2, s10
	s_add_u32 s6, s6, 8
	v_mov_b32_e32 v3, s11
	s_addc_u32 s7, s7, 0
	v_cmp_ge_u64_e32 vcc, s[22:23], v[2:3]
	s_add_u32 s20, s20, 8
	v_add3_u32 v5, v7, v5, v6
	s_addc_u32 s21, s21, 0
	s_cbranch_vccnz .LBB0_9
; %bb.7:                                ;   in Loop: Header=BB0_2 Depth=1
	v_mov_b32_e32 v6, v102
	v_mov_b32_e32 v7, v103
	s_branch .LBB0_2
.LBB0_8:
	v_mov_b32_e32 v101, v5
	v_mov_b32_e32 v103, v7
	;; [unrolled: 1-line block ×4, first 2 shown]
.LBB0_9:
	s_load_dwordx2 s[0:1], s[4:5], 0x28
	s_lshl_b64 s[6:7], s[10:11], 3
	s_add_u32 s2, s18, s6
	s_addc_u32 s3, s19, s7
                                        ; implicit-def: $vgpr108
                                        ; implicit-def: $vgpr72
	s_waitcnt lgkmcnt(0)
	v_cmp_gt_u64_e32 vcc, s[0:1], v[102:103]
	v_cmp_le_u64_e64 s[0:1], s[0:1], v[102:103]
	s_and_saveexec_b64 s[4:5], s[0:1]
	s_xor_b64 s[0:1], exec, s[4:5]
; %bb.10:
	s_mov_b32 s4, 0x4924925
	v_mul_hi_u32 v1, v0, s4
                                        ; implicit-def: $vgpr4_vgpr5
	v_mul_u32_u24_e32 v1, 56, v1
	v_sub_u32_e32 v108, v0, v1
	v_or_b32_e32 v72, 0x1c0, v108
                                        ; implicit-def: $vgpr0
; %bb.11:
	s_or_saveexec_b64 s[4:5], s[0:1]
                                        ; implicit-def: $vgpr50_vgpr51
                                        ; implicit-def: $vgpr26_vgpr27
                                        ; implicit-def: $vgpr38_vgpr39
                                        ; implicit-def: $vgpr30_vgpr31
                                        ; implicit-def: $vgpr42_vgpr43
                                        ; implicit-def: $vgpr34_vgpr35
                                        ; implicit-def: $vgpr46_vgpr47
                                        ; implicit-def: $vgpr18_vgpr19
                                        ; implicit-def: $vgpr54_vgpr55
                                        ; implicit-def: $vgpr14_vgpr15
                                        ; implicit-def: $vgpr58_vgpr59
                                        ; implicit-def: $vgpr10_vgpr11
                                        ; implicit-def: $vgpr62_vgpr63
                                        ; implicit-def: $vgpr6_vgpr7
                                        ; implicit-def: $vgpr66_vgpr67
                                        ; implicit-def: $vgpr2_vgpr3
                                        ; implicit-def: $vgpr70_vgpr71
                                        ; implicit-def: $vgpr22_vgpr23
	s_xor_b64 exec, exec, s[4:5]
	s_cbranch_execz .LBB0_13
; %bb.12:
	s_add_u32 s0, s16, s6
	s_addc_u32 s1, s17, s7
	s_load_dwordx2 s[0:1], s[0:1], 0x0
	s_mov_b32 s6, 0x4924925
	v_mul_hi_u32 v3, v0, s6
	s_waitcnt lgkmcnt(0)
	v_mul_lo_u32 v6, s1, v102
	v_mul_lo_u32 v7, s0, v103
	v_mad_u64_u32 v[1:2], s[0:1], s0, v102, 0
	v_mul_u32_u24_e32 v3, 56, v3
	v_sub_u32_e32 v108, v0, v3
	v_add3_u32 v2, v2, v7, v6
	v_lshlrev_b64 v[0:1], 4, v[1:2]
	v_mov_b32_e32 v2, s13
	v_add_co_u32_e64 v3, s[0:1], s12, v0
	v_addc_co_u32_e64 v2, s[0:1], v2, v1, s[0:1]
	v_lshlrev_b64 v[0:1], 4, v[4:5]
	v_lshlrev_b32_e32 v28, 4, v108
	v_add_co_u32_e64 v26, s[0:1], v3, v0
	v_addc_co_u32_e64 v27, s[0:1], v2, v1, s[0:1]
	v_add_co_u32_e64 v24, s[0:1], v26, v28
	v_addc_co_u32_e64 v25, s[0:1], 0, v27, s[0:1]
	s_movk_i32 s0, 0x1000
	v_add_co_u32_e64 v73, s[0:1], s0, v24
	v_addc_co_u32_e64 v74, s[0:1], 0, v25, s[0:1]
	s_movk_i32 s0, 0x2000
	;; [unrolled: 3-line block ×3, first 2 shown]
	v_add_co_u32_e64 v77, s[0:1], s0, v24
	global_load_dwordx4 v[20:23], v[24:25], off
	global_load_dwordx4 v[0:3], v[24:25], off offset:896
	global_load_dwordx4 v[4:7], v[24:25], off offset:1792
	;; [unrolled: 1-line block ×5, first 2 shown]
	v_addc_co_u32_e64 v78, s[0:1], 0, v25, s[0:1]
	v_or_b32_e32 v24, 0x3800, v28
	v_add_co_u32_e64 v79, s[0:1], v26, v24
	v_or_b32_e32 v72, 0x1c0, v108
	v_addc_co_u32_e64 v80, s[0:1], 0, v27, s[0:1]
	v_lshlrev_b32_e32 v24, 4, v72
	v_add_co_u32_e64 v81, s[0:1], v26, v24
	v_addc_co_u32_e64 v82, s[0:1], 0, v27, s[0:1]
	global_load_dwordx4 v[36:39], v[79:80], off
	global_load_dwordx4 v[24:27], v[81:82], off
	global_load_dwordx4 v[32:35], v[73:74], off offset:1280
	global_load_dwordx4 v[28:31], v[73:74], off offset:2176
	;; [unrolled: 1-line block ×10, first 2 shown]
.LBB0_13:
	s_or_b64 exec, exec, s[4:5]
	s_waitcnt vmcnt(7)
	v_add_f64 v[75:76], v[20:21], -v[68:69]
	s_waitcnt vmcnt(6)
	v_add_f64 v[79:80], v[0:1], -v[64:65]
	;; [unrolled: 2-line block ×4, first 2 shown]
	v_lshl_add_u32 v60, v108, 4, 0
	v_add_u32_e32 v110, 56, v108
	v_add_u32_e32 v109, 0x70, v108
	v_lshl_add_u32 v61, v109, 4, 0
	v_fma_f64 v[73:74], v[20:21], 2.0, -v[75:76]
	v_fma_f64 v[77:78], v[0:1], 2.0, -v[79:80]
	;; [unrolled: 1-line block ×4, first 2 shown]
	v_lshl_add_u32 v1, v110, 4, 0
	v_add_u32_e32 v20, 0xa8, v108
	v_lshl_add_u32 v64, v20, 4, 0
	v_add_f64 v[70:71], v[22:23], -v[70:71]
	ds_write_b128 v60, v[73:76]
	ds_write_b128 v1, v[77:80]
	s_waitcnt vmcnt(2)
	v_add_f64 v[75:76], v[16:17], -v[44:45]
	s_waitcnt vmcnt(1)
	v_add_f64 v[79:80], v[32:33], -v[40:41]
	ds_write_b128 v61, v[81:84]
	v_add_f64 v[83:84], v[28:29], -v[36:37]
	v_add_f64 v[91:92], v[12:13], -v[52:53]
	ds_write_b128 v64, v[85:88]
	s_waitcnt vmcnt(0)
	v_add_f64 v[87:88], v[24:25], -v[48:49]
	v_add_f64 v[4:5], v[2:3], -v[66:67]
	;; [unrolled: 1-line block ×4, first 2 shown]
	v_fma_f64 v[73:74], v[16:17], 2.0, -v[75:76]
	v_add_f64 v[16:17], v[14:15], -v[54:55]
	v_add_f64 v[48:49], v[18:19], -v[46:47]
	;; [unrolled: 1-line block ×3, first 2 shown]
	v_fma_f64 v[77:78], v[32:33], 2.0, -v[79:80]
	v_add_f64 v[32:33], v[30:31], -v[38:39]
	v_fma_f64 v[81:82], v[28:29], 2.0, -v[83:84]
	v_add_f64 v[28:29], v[26:27], -v[50:51]
	v_fma_f64 v[68:69], v[22:23], 2.0, -v[70:71]
	v_fma_f64 v[89:90], v[12:13], 2.0, -v[91:92]
	;; [unrolled: 1-line block ×9, first 2 shown]
	v_add_u32_e32 v12, 0xe0, v108
	v_add_u32_e32 v13, 0x118, v108
	;; [unrolled: 1-line block ×4, first 2 shown]
	v_lshl_add_u32 v105, v72, 4, 0
	v_lshlrev_b32_e32 v0, 3, v72
	v_fma_f64 v[30:31], v[30:31], 2.0, -v[32:33]
	v_lshl_add_u32 v65, v12, 4, 0
	v_lshl_add_u32 v97, v13, 4, 0
	;; [unrolled: 1-line block ×4, first 2 shown]
	v_sub_u32_e32 v0, v105, v0
	v_lshl_add_u32 v111, v108, 3, 0
	v_fma_f64 v[26:27], v[26:27], 2.0, -v[28:29]
	v_and_b32_e32 v51, 1, v108
	ds_write_b128 v65, v[89:92]
	ds_write_b128 v97, v[73:76]
	;; [unrolled: 1-line block ×5, first 2 shown]
	s_load_dwordx2 s[2:3], s[2:3], 0x0
	s_waitcnt lgkmcnt(0)
	; wave barrier
	s_waitcnt lgkmcnt(0)
	v_add_u32_e32 v8, 0xc00, v111
	v_add_u32_e32 v106, 0x1000, v111
	;; [unrolled: 1-line block ×6, first 2 shown]
	ds_read_b64 v[52:53], v0
	ds_read_b64 v[56:57], v111 offset:7616
	ds_read2_b64 v[21:24], v111 offset1:56
	ds_read2_b64 v[73:76], v8 offset0:120 offset1:176
	ds_read2_b64 v[77:80], v111 offset0:112 offset1:168
	;; [unrolled: 1-line block ×7, first 2 shown]
	s_waitcnt lgkmcnt(0)
	; wave barrier
	s_waitcnt lgkmcnt(0)
	ds_write_b128 v60, v[68:71]
	ds_write_b128 v1, v[2:5]
	;; [unrolled: 1-line block ×9, first 2 shown]
	v_lshlrev_b32_e32 v1, 4, v51
	s_waitcnt lgkmcnt(0)
	; wave barrier
	s_waitcnt lgkmcnt(0)
	global_load_dwordx4 v[1:4], v1, s[8:9]
	ds_read2_b64 v[25:28], v106 offset0:104 offset1:160
	ds_read2_b64 v[29:32], v107 offset0:88 offset1:144
	;; [unrolled: 1-line block ×3, first 2 shown]
	s_movk_i32 s0, 0x7c
	s_movk_i32 s1, 0x2fc
	s_mov_b32 s4, 0xe8584caa
	s_mov_b32 s5, 0xbfebb67a
	;; [unrolled: 1-line block ×4, first 2 shown]
	s_waitcnt vmcnt(0) lgkmcnt(2)
	v_mul_f64 v[35:36], v[25:26], v[3:4]
	v_mul_f64 v[33:34], v[75:76], v[3:4]
	;; [unrolled: 1-line block ×4, first 2 shown]
	s_waitcnt lgkmcnt(0)
	v_mul_f64 v[5:6], v[14:15], v[3:4]
	v_mul_f64 v[10:11], v[16:17], v[3:4]
	;; [unrolled: 1-line block ×4, first 2 shown]
	v_fma_f64 v[43:44], v[81:82], v[1:2], v[35:36]
	v_mul_f64 v[35:36], v[31:32], v[3:4]
	v_fma_f64 v[65:66], v[16:17], v[1:2], -v[33:34]
	v_mul_f64 v[33:34], v[29:30], v[3:4]
	v_fma_f64 v[18:19], v[14:15], v[1:2], -v[18:19]
	v_fma_f64 v[69:70], v[27:28], v[1:2], -v[41:42]
	ds_read2_b64 v[14:17], v112 offset0:72 offset1:128
	v_fma_f64 v[5:6], v[73:74], v[1:2], v[5:6]
	v_fma_f64 v[10:11], v[75:76], v[1:2], v[10:11]
	;; [unrolled: 1-line block ×3, first 2 shown]
	ds_read_b64 v[35:36], v111 offset:7616
	ds_read_b64 v[73:74], v0
	v_fma_f64 v[67:68], v[25:26], v[1:2], -v[39:40]
	v_mul_f64 v[25:26], v[89:90], v[3:4]
	v_fma_f64 v[39:40], v[89:90], v[1:2], v[33:34]
	v_mul_f64 v[27:28], v[91:92], v[3:4]
	s_waitcnt lgkmcnt(2)
	v_mul_f64 v[33:34], v[14:15], v[3:4]
	v_mul_f64 v[45:46], v[16:17], v[3:4]
	;; [unrolled: 1-line block ×4, first 2 shown]
	s_waitcnt lgkmcnt(1)
	v_mul_f64 v[54:55], v[35:36], v[3:4]
	v_mul_f64 v[3:4], v[56:57], v[3:4]
	v_add_f64 v[5:6], v[21:22], -v[5:6]
	v_fma_f64 v[37:38], v[83:84], v[1:2], v[37:38]
	v_fma_f64 v[75:76], v[29:30], v[1:2], -v[25:26]
	v_fma_f64 v[81:82], v[31:32], v[1:2], -v[27:28]
	v_fma_f64 v[58:59], v[114:115], v[1:2], v[33:34]
	v_fma_f64 v[45:46], v[116:117], v[1:2], v[45:46]
	v_fma_f64 v[83:84], v[14:15], v[1:2], -v[47:48]
	v_fma_f64 v[91:92], v[35:36], v[1:2], -v[3:4]
	v_add_f64 v[3:4], v[23:24], -v[10:11]
	v_fma_f64 v[10:11], v[21:22], 2.0, -v[5:6]
	v_add_f64 v[21:22], v[77:78], -v[43:44]
	v_fma_f64 v[89:90], v[16:17], v[1:2], -v[49:50]
	v_fma_f64 v[47:48], v[56:57], v[1:2], v[54:55]
	v_lshlrev_b32_e32 v1, 1, v108
	v_and_or_b32 v2, v1, s0, v51
	v_lshl_add_u32 v97, v2, 3, 0
	v_fma_f64 v[23:24], v[23:24], 2.0, -v[3:4]
	s_movk_i32 s0, 0xfc
	v_lshlrev_b32_e32 v2, 1, v110
	ds_read2_b64 v[14:17], v111 offset1:56
	ds_read2_b64 v[25:28], v111 offset0:112 offset1:168
	ds_read2_b64 v[29:32], v9 offset0:96 offset1:152
	;; [unrolled: 1-line block ×3, first 2 shown]
	s_waitcnt lgkmcnt(0)
	; wave barrier
	s_waitcnt lgkmcnt(0)
	ds_write2_b64 v97, v[10:11], v[5:6] offset1:2
	v_and_or_b32 v7, v2, s0, v51
	v_add_f64 v[5:6], v[79:80], -v[37:38]
	v_lshl_add_u32 v104, v7, 3, 0
	v_fma_f64 v[10:11], v[77:78], 2.0, -v[21:22]
	ds_write2_b64 v104, v[23:24], v[3:4] offset1:2
	v_add_f64 v[23:24], v[85:86], -v[39:40]
	s_movk_i32 s0, 0x1fc
	v_lshlrev_b32_e32 v7, 1, v109
	v_and_or_b32 v3, v7, s0, v51
	v_fma_f64 v[37:38], v[79:80], 2.0, -v[5:6]
	v_lshl_add_u32 v105, v3, 3, 0
	ds_write2_b64 v105, v[10:11], v[21:22] offset1:2
	v_add_f64 v[21:22], v[87:88], -v[41:42]
	v_fma_f64 v[10:11], v[85:86], 2.0, -v[23:24]
	v_lshlrev_b32_e32 v4, 1, v20
	v_and_or_b32 v3, v4, s0, v51
	v_lshl_add_u32 v85, v3, 3, 0
	s_movk_i32 s0, 0x3fc
	v_lshlrev_b32_e32 v3, 1, v12
	ds_write2_b64 v85, v[37:38], v[5:6] offset1:2
	v_and_or_b32 v5, v3, s0, v51
	v_lshl_add_u32 v86, v5, 3, 0
	ds_write2_b64 v86, v[10:11], v[23:24] offset1:2
	v_fma_f64 v[10:11], v[87:88], 2.0, -v[21:22]
	v_add_f64 v[23:24], v[93:94], -v[58:59]
	v_add_f64 v[37:38], v[95:96], -v[45:46]
	;; [unrolled: 1-line block ×4, first 2 shown]
	v_lshlrev_b32_e32 v5, 1, v13
	v_and_or_b32 v6, v5, s1, v51
	v_lshl_add_u32 v87, v6, 3, 0
	ds_write2_b64 v87, v[10:11], v[21:22] offset1:2
	v_fma_f64 v[21:22], v[93:94], 2.0, -v[23:24]
	v_fma_f64 v[41:42], v[95:96], 2.0, -v[37:38]
	;; [unrolled: 1-line block ×4, first 2 shown]
	v_lshlrev_b32_e32 v11, 1, v98
	v_and_or_b32 v45, v11, s0, v51
	v_lshlrev_b32_e32 v10, 1, v99
	v_lshl_add_u32 v88, v45, 3, 0
	v_lshlrev_b32_e32 v6, 1, v72
	ds_write2_b64 v88, v[21:22], v[23:24] offset1:2
	v_and_or_b32 v21, v10, s0, v51
	v_lshl_add_u32 v93, v21, 3, 0
	v_and_or_b32 v21, v6, s0, v51
	v_lshl_add_u32 v94, v21, 3, 0
	ds_write2_b64 v93, v[41:42], v[37:38] offset1:2
	ds_write2_b64 v94, v[43:44], v[39:40] offset1:2
	s_waitcnt lgkmcnt(0)
	; wave barrier
	s_waitcnt lgkmcnt(0)
	ds_read2_b64 v[21:24], v111 offset1:56
	ds_read2_b64 v[37:40], v8 offset0:120 offset1:176
	ds_read_b64 v[71:72], v0
	ds_read_b64 v[77:78], v111 offset:7616
	ds_read2_b64 v[41:44], v111 offset0:112 offset1:168
	ds_read2_b64 v[45:48], v106 offset0:104 offset1:160
	;; [unrolled: 1-line block ×6, first 2 shown]
	s_waitcnt lgkmcnt(0)
	; wave barrier
	s_waitcnt lgkmcnt(0)
	ds_write2_b64 v97, v[14:15], v[18:19] offset1:2
	v_add_f64 v[14:15], v[16:17], -v[65:66]
	v_add_f64 v[18:19], v[25:26], -v[67:68]
	;; [unrolled: 1-line block ×8, first 2 shown]
	v_fma_f64 v[16:17], v[16:17], 2.0, -v[14:15]
	v_fma_f64 v[25:26], v[25:26], 2.0, -v[18:19]
	;; [unrolled: 1-line block ×8, first 2 shown]
	v_and_b32_e32 v91, 3, v108
	ds_write2_b64 v104, v[16:17], v[14:15] offset1:2
	ds_write2_b64 v105, v[25:26], v[18:19] offset1:2
	;; [unrolled: 1-line block ×8, first 2 shown]
	v_lshlrev_b32_e32 v14, 4, v91
	s_waitcnt lgkmcnt(0)
	; wave barrier
	s_waitcnt lgkmcnt(0)
	global_load_dwordx4 v[14:17], v14, s[8:9] offset:32
	ds_read2_b64 v[25:28], v8 offset0:120 offset1:176
	ds_read2_b64 v[29:32], v106 offset0:104 offset1:160
	s_movk_i32 s0, 0x78
	ds_read_b64 v[83:84], v0
	s_movk_i32 s1, 0x2f8
	s_waitcnt vmcnt(0) lgkmcnt(2)
	v_mul_f64 v[18:19], v[25:26], v[16:17]
	v_mul_f64 v[33:34], v[27:28], v[16:17]
	;; [unrolled: 1-line block ×4, first 2 shown]
	s_waitcnt lgkmcnt(1)
	v_mul_f64 v[69:70], v[31:32], v[16:17]
	v_mul_f64 v[73:74], v[47:48], v[16:17]
	;; [unrolled: 1-line block ×3, first 2 shown]
	v_fma_f64 v[18:19], v[37:38], v[14:15], v[18:19]
	v_fma_f64 v[37:38], v[39:40], v[14:15], v[33:34]
	v_mul_f64 v[39:40], v[29:30], v[16:17]
	ds_read2_b64 v[33:36], v107 offset0:88 offset1:144
	v_fma_f64 v[65:66], v[25:26], v[14:15], -v[65:66]
	v_mul_f64 v[25:26], v[45:46], v[16:17]
	v_fma_f64 v[67:68], v[27:28], v[14:15], -v[67:68]
	v_fma_f64 v[47:48], v[47:48], v[14:15], v[69:70]
	s_waitcnt lgkmcnt(0)
	v_mul_f64 v[75:76], v[33:34], v[16:17]
	v_mul_f64 v[79:80], v[35:36], v[16:17]
	v_fma_f64 v[39:40], v[45:46], v[14:15], v[39:40]
	v_mul_f64 v[45:46], v[53:54], v[16:17]
	v_add_f64 v[18:19], v[21:22], -v[18:19]
	v_fma_f64 v[69:70], v[29:30], v[14:15], -v[25:26]
	ds_read2_b64 v[25:28], v112 offset0:72 offset1:128
	v_add_f64 v[37:38], v[23:24], -v[37:38]
	v_fma_f64 v[53:54], v[53:54], v[14:15], v[75:76]
	v_fma_f64 v[75:76], v[55:56], v[14:15], v[79:80]
	v_mul_f64 v[29:30], v[55:56], v[16:17]
	v_fma_f64 v[79:80], v[33:34], v[14:15], -v[45:46]
	ds_read_b64 v[33:34], v111 offset:7616
	s_waitcnt lgkmcnt(1)
	v_mul_f64 v[45:46], v[27:28], v[16:17]
	v_mul_f64 v[55:56], v[61:62], v[16:17]
	v_fma_f64 v[73:74], v[31:32], v[14:15], -v[73:74]
	v_mul_f64 v[31:32], v[25:26], v[16:17]
	s_waitcnt lgkmcnt(0)
	v_mul_f64 v[85:86], v[33:34], v[16:17]
	v_mul_f64 v[16:17], v[77:78], v[16:17]
	v_fma_f64 v[21:22], v[21:22], 2.0, -v[18:19]
	v_add_f64 v[39:40], v[41:42], -v[39:40]
	v_fma_f64 v[23:24], v[23:24], 2.0, -v[37:38]
	v_fma_f64 v[45:46], v[63:64], v[14:15], v[45:46]
	v_and_or_b32 v63, v1, s0, v91
	v_fma_f64 v[89:90], v[25:26], v[14:15], -v[55:56]
	v_fma_f64 v[55:56], v[77:78], v[14:15], v[85:86]
	v_lshl_add_u32 v85, v63, 3, 0
	v_fma_f64 v[87:88], v[35:36], v[14:15], -v[29:30]
	v_fma_f64 v[61:62], v[61:62], v[14:15], v[31:32]
	v_fma_f64 v[81:82], v[27:28], v[14:15], -v[81:82]
	v_fma_f64 v[77:78], v[33:34], v[14:15], -v[16:17]
	ds_read2_b64 v[14:17], v111 offset1:56
	ds_read2_b64 v[25:28], v111 offset0:112 offset1:168
	ds_read2_b64 v[29:32], v9 offset0:96 offset1:152
	;; [unrolled: 1-line block ×3, first 2 shown]
	s_waitcnt lgkmcnt(0)
	; wave barrier
	s_waitcnt lgkmcnt(0)
	ds_write2_b64 v85, v[21:22], v[18:19] offset1:4
	v_add_f64 v[18:19], v[43:44], -v[47:48]
	s_movk_i32 s0, 0xf8
	v_and_or_b32 v47, v2, s0, v91
	v_fma_f64 v[21:22], v[41:42], 2.0, -v[39:40]
	v_lshl_add_u32 v86, v47, 3, 0
	ds_write2_b64 v86, v[23:24], v[37:38] offset1:4
	v_add_f64 v[23:24], v[49:50], -v[53:54]
	s_movk_i32 s0, 0x1f8
	v_fma_f64 v[37:38], v[43:44], 2.0, -v[18:19]
	v_and_or_b32 v41, v7, s0, v91
	v_lshl_add_u32 v92, v41, 3, 0
	ds_write2_b64 v92, v[21:22], v[39:40] offset1:4
	v_and_or_b32 v39, v4, s0, v91
	v_add_f64 v[21:22], v[51:52], -v[75:76]
	v_lshl_add_u32 v93, v39, 3, 0
	v_fma_f64 v[39:40], v[49:50], 2.0, -v[23:24]
	ds_write2_b64 v93, v[37:38], v[18:19] offset1:4
	s_movk_i32 s0, 0x3f8
	v_add_f64 v[18:19], v[57:58], -v[61:62]
	v_and_or_b32 v37, v3, s0, v91
	v_lshl_add_u32 v94, v37, 3, 0
	v_fma_f64 v[37:38], v[51:52], 2.0, -v[21:22]
	v_add_f64 v[41:42], v[59:60], -v[45:46]
	ds_write2_b64 v94, v[39:40], v[23:24] offset1:4
	v_add_f64 v[23:24], v[71:72], -v[55:56]
	v_add_f64 v[65:66], v[14:15], -v[65:66]
	v_fma_f64 v[39:40], v[57:58], 2.0, -v[18:19]
	v_and_or_b32 v43, v5, s1, v91
	v_lshl_add_u32 v95, v43, 3, 0
	ds_write2_b64 v95, v[37:38], v[21:22] offset1:4
	v_fma_f64 v[21:22], v[59:60], 2.0, -v[41:42]
	v_and_or_b32 v43, v11, s0, v91
	v_fma_f64 v[37:38], v[71:72], 2.0, -v[23:24]
	v_fma_f64 v[14:15], v[14:15], 2.0, -v[65:66]
	v_lshl_add_u32 v96, v43, 3, 0
	ds_write2_b64 v96, v[39:40], v[18:19] offset1:4
	v_and_or_b32 v18, v10, s0, v91
	v_lshl_add_u32 v97, v18, 3, 0
	v_and_or_b32 v18, v6, s0, v91
	v_lshl_add_u32 v91, v18, 3, 0
	ds_write2_b64 v97, v[21:22], v[41:42] offset1:4
	ds_write2_b64 v91, v[37:38], v[23:24] offset1:4
	s_waitcnt lgkmcnt(0)
	; wave barrier
	s_waitcnt lgkmcnt(0)
	ds_read2_b64 v[21:24], v111 offset1:56
	ds_read2_b64 v[37:40], v8 offset0:120 offset1:176
	ds_read_b64 v[18:19], v0
	ds_read_b64 v[71:72], v111 offset:7616
	ds_read2_b64 v[41:44], v111 offset0:112 offset1:168
	ds_read2_b64 v[45:48], v106 offset0:104 offset1:160
	;; [unrolled: 1-line block ×6, first 2 shown]
	s_waitcnt lgkmcnt(0)
	; wave barrier
	s_waitcnt lgkmcnt(0)
	ds_write2_b64 v85, v[14:15], v[65:66] offset1:4
	v_add_f64 v[14:15], v[16:17], -v[67:68]
	v_add_f64 v[65:66], v[25:26], -v[69:70]
	;; [unrolled: 1-line block ×8, first 2 shown]
	v_fma_f64 v[16:17], v[16:17], 2.0, -v[14:15]
	v_fma_f64 v[25:26], v[25:26], 2.0, -v[65:66]
	;; [unrolled: 1-line block ×8, first 2 shown]
	v_and_b32_e32 v89, 7, v108
	ds_write2_b64 v86, v[16:17], v[14:15] offset1:4
	ds_write2_b64 v92, v[25:26], v[65:66] offset1:4
	;; [unrolled: 1-line block ×8, first 2 shown]
	v_lshlrev_b32_e32 v14, 4, v89
	s_waitcnt lgkmcnt(0)
	; wave barrier
	s_waitcnt lgkmcnt(0)
	global_load_dwordx4 v[14:17], v14, s[8:9] offset:96
	ds_read2_b64 v[25:28], v8 offset0:120 offset1:176
	ds_read2_b64 v[29:32], v106 offset0:104 offset1:160
	s_movk_i32 s0, 0x70
	ds_read_b64 v[83:84], v0
	s_movk_i32 s1, 0x2f0
	v_and_b32_e32 v94, 15, v20
	v_and_b32_e32 v95, 15, v13
	v_and_b32_e32 v96, 15, v110
	s_waitcnt vmcnt(0) lgkmcnt(2)
	v_mul_f64 v[33:34], v[25:26], v[16:17]
	v_mul_f64 v[65:66], v[37:38], v[16:17]
	s_waitcnt lgkmcnt(1)
	v_mul_f64 v[69:70], v[29:30], v[16:17]
	v_mul_f64 v[35:36], v[27:28], v[16:17]
	;; [unrolled: 1-line block ×6, first 2 shown]
	v_fma_f64 v[37:38], v[37:38], v[14:15], v[33:34]
	v_fma_f64 v[65:66], v[25:26], v[14:15], -v[65:66]
	v_mul_f64 v[25:26], v[45:46], v[16:17]
	v_fma_f64 v[45:46], v[45:46], v[14:15], v[69:70]
	v_mul_f64 v[69:70], v[53:54], v[16:17]
	v_fma_f64 v[39:40], v[39:40], v[14:15], v[35:36]
	ds_read2_b64 v[33:36], v107 offset0:88 offset1:144
	v_fma_f64 v[67:68], v[27:28], v[14:15], -v[67:68]
	v_add_f64 v[37:38], v[21:22], -v[37:38]
	v_fma_f64 v[47:48], v[47:48], v[14:15], v[73:74]
	v_fma_f64 v[73:74], v[29:30], v[14:15], -v[25:26]
	s_waitcnt lgkmcnt(0)
	v_mul_f64 v[77:78], v[33:34], v[16:17]
	v_mul_f64 v[79:80], v[35:36], v[16:17]
	v_fma_f64 v[69:70], v[33:34], v[14:15], -v[69:70]
	ds_read_b64 v[33:34], v111 offset:7616
	ds_read2_b64 v[25:28], v112 offset0:72 offset1:128
	v_add_f64 v[39:40], v[23:24], -v[39:40]
	v_fma_f64 v[75:76], v[31:32], v[14:15], -v[75:76]
	v_mul_f64 v[29:30], v[55:56], v[16:17]
	s_waitcnt lgkmcnt(1)
	v_mul_f64 v[85:86], v[33:34], v[16:17]
	v_fma_f64 v[53:54], v[53:54], v[14:15], v[77:78]
	v_fma_f64 v[77:78], v[55:56], v[14:15], v[79:80]
	s_waitcnt lgkmcnt(0)
	v_mul_f64 v[31:32], v[25:26], v[16:17]
	v_mul_f64 v[55:56], v[27:28], v[16:17]
	;; [unrolled: 1-line block ×4, first 2 shown]
	v_fma_f64 v[21:22], v[21:22], 2.0, -v[37:38]
	v_add_f64 v[45:46], v[41:42], -v[45:46]
	v_fma_f64 v[71:72], v[71:72], v[14:15], v[85:86]
	v_and_or_b32 v85, v1, s0, v89
	v_fma_f64 v[0:1], v[23:24], 2.0, -v[39:40]
	v_lshl_add_u32 v85, v85, 3, 0
	v_fma_f64 v[87:88], v[35:36], v[14:15], -v[29:30]
	v_fma_f64 v[61:62], v[61:62], v[14:15], v[31:32]
	v_fma_f64 v[55:56], v[63:64], v[14:15], v[55:56]
	v_fma_f64 v[63:64], v[25:26], v[14:15], -v[79:80]
	v_fma_f64 v[79:80], v[27:28], v[14:15], -v[81:82]
	;; [unrolled: 1-line block ×3, first 2 shown]
	ds_read2_b64 v[14:17], v111 offset1:56
	ds_read2_b64 v[25:28], v111 offset0:112 offset1:168
	ds_read2_b64 v[29:32], v9 offset0:96 offset1:152
	;; [unrolled: 1-line block ×3, first 2 shown]
	s_waitcnt lgkmcnt(0)
	; wave barrier
	s_waitcnt lgkmcnt(0)
	ds_write2_b64 v85, v[21:22], v[37:38] offset1:8
	v_fma_f64 v[21:22], v[41:42], 2.0, -v[45:46]
	v_add_f64 v[23:24], v[43:44], -v[47:48]
	s_movk_i32 s0, 0xf0
	v_and_or_b32 v2, v2, s0, v89
	v_lshl_add_u32 v86, v2, 3, 0
	s_movk_i32 s0, 0x1f0
	ds_write2_b64 v86, v[0:1], v[39:40] offset1:8
	v_and_or_b32 v0, v7, s0, v89
	v_lshl_add_u32 v90, v0, 3, 0
	ds_write2_b64 v90, v[21:22], v[45:46] offset1:8
	v_fma_f64 v[0:1], v[43:44], 2.0, -v[23:24]
	v_add_f64 v[21:22], v[49:50], -v[53:54]
	v_and_or_b32 v2, v4, s0, v89
	v_add_f64 v[37:38], v[51:52], -v[77:78]
	v_lshl_add_u32 v77, v2, 3, 0
	v_add_f64 v[39:40], v[57:58], -v[61:62]
	v_add_f64 v[41:42], v[59:60], -v[55:56]
	;; [unrolled: 1-line block ×3, first 2 shown]
	ds_write2_b64 v77, v[0:1], v[23:24] offset1:8
	v_fma_f64 v[0:1], v[49:50], 2.0, -v[21:22]
	v_add_f64 v[61:62], v[14:15], -v[65:66]
	s_movk_i32 s0, 0x3f0
	v_and_or_b32 v2, v3, s0, v89
	v_lshl_add_u32 v78, v2, 3, 0
	v_fma_f64 v[23:24], v[51:52], 2.0, -v[37:38]
	v_fma_f64 v[45:46], v[57:58], 2.0, -v[39:40]
	v_fma_f64 v[47:48], v[59:60], 2.0, -v[41:42]
	ds_write2_b64 v78, v[0:1], v[21:22] offset1:8
	v_and_or_b32 v0, v5, s1, v89
	v_lshl_add_u32 v91, v0, 3, 0
	v_and_or_b32 v0, v11, s0, v89
	v_fma_f64 v[18:19], v[18:19], 2.0, -v[43:44]
	v_lshl_add_u32 v92, v0, 3, 0
	v_and_or_b32 v0, v10, s0, v89
	v_fma_f64 v[10:11], v[14:15], 2.0, -v[61:62]
	v_lshl_add_u32 v93, v0, 3, 0
	v_and_or_b32 v0, v6, s0, v89
	v_lshl_add_u32 v89, v0, 3, 0
	ds_write2_b64 v91, v[23:24], v[37:38] offset1:8
	ds_write2_b64 v92, v[45:46], v[39:40] offset1:8
	;; [unrolled: 1-line block ×4, first 2 shown]
	s_waitcnt lgkmcnt(0)
	; wave barrier
	s_waitcnt lgkmcnt(0)
	ds_read2_b64 v[4:7], v111 offset1:56
	ds_read2_b64 v[21:24], v113 offset0:80 offset1:136
	ds_read2_b64 v[37:40], v106 offset0:160 offset1:216
	;; [unrolled: 1-line block ×8, first 2 shown]
	s_waitcnt lgkmcnt(0)
	; wave barrier
	s_waitcnt lgkmcnt(0)
	ds_write2_b64 v85, v[10:11], v[61:62] offset1:8
	v_add_f64 v[10:11], v[16:17], -v[67:68]
	v_add_f64 v[14:15], v[25:26], -v[73:74]
	;; [unrolled: 1-line block ×8, first 2 shown]
	v_fma_f64 v[16:17], v[16:17], 2.0, -v[10:11]
	v_fma_f64 v[25:26], v[25:26], 2.0, -v[14:15]
	;; [unrolled: 1-line block ×8, first 2 shown]
	ds_write2_b64 v86, v[16:17], v[10:11] offset1:8
	ds_write2_b64 v90, v[25:26], v[14:15] offset1:8
	;; [unrolled: 1-line block ×8, first 2 shown]
	v_and_b32_e32 v93, 15, v108
	v_lshlrev_b32_e32 v18, 5, v93
	s_waitcnt lgkmcnt(0)
	; wave barrier
	s_waitcnt lgkmcnt(0)
	global_load_dwordx4 v[14:17], v18, s[8:9] offset:240
	v_lshlrev_b32_e32 v19, 5, v94
	global_load_dwordx4 v[25:28], v19, s[8:9] offset:240
	v_lshlrev_b32_e32 v73, 5, v95
	global_load_dwordx2 v[10:11], v73, s[8:9] offset:248
	global_load_dwordx4 v[29:32], v73, s[8:9] offset:240
	global_load_dwordx4 v[33:36], v73, s[8:9] offset:232
	;; [unrolled: 1-line block ×5, first 2 shown]
	v_lshlrev_b32_e32 v18, 5, v96
	global_load_dwordx2 v[18:19], v18, s[8:9] offset:224
	ds_read2_b64 v[73:76], v112 offset0:16 offset1:72
	ds_read2_b64 v[77:80], v106 offset0:160 offset1:216
	v_cmp_gt_u32_e64 s[0:1], 48, v108
	s_waitcnt vmcnt(8) lgkmcnt(1)
	v_mul_f64 v[81:82], v[73:74], v[16:17]
	v_mul_f64 v[87:88], v[49:50], v[16:17]
	s_waitcnt vmcnt(7)
	v_mul_f64 v[85:86], v[75:76], v[27:28]
	v_mul_f64 v[27:28], v[51:52], v[27:28]
	v_fma_f64 v[89:90], v[49:50], v[14:15], v[81:82]
	ds_read2_b64 v[81:84], v112 offset0:128 offset1:184
	s_waitcnt lgkmcnt(1)
	v_mul_f64 v[49:50], v[77:78], v[16:17]
	v_fma_f64 v[85:86], v[51:52], v[25:26], v[85:86]
	v_mul_f64 v[51:52], v[37:38], v[16:17]
	v_fma_f64 v[75:76], v[75:76], v[25:26], -v[27:28]
	s_waitcnt lgkmcnt(0)
	v_mul_f64 v[25:26], v[81:82], v[16:17]
	v_mul_f64 v[16:17], v[57:58], v[16:17]
	s_waitcnt vmcnt(6)
	v_mul_f64 v[27:28], v[83:84], v[10:11]
	v_mul_f64 v[10:11], v[59:60], v[10:11]
	v_fma_f64 v[37:38], v[37:38], v[14:15], v[49:50]
	v_fma_f64 v[73:74], v[73:74], v[14:15], -v[87:88]
	v_fma_f64 v[49:50], v[77:78], v[14:15], -v[51:52]
	s_waitcnt vmcnt(5)
	v_mul_f64 v[51:52], v[79:80], v[31:32]
	v_fma_f64 v[57:58], v[57:58], v[14:15], v[25:26]
	v_fma_f64 v[77:78], v[81:82], v[14:15], -v[16:17]
	v_fma_f64 v[59:60], v[59:60], v[29:30], v[27:28]
	ds_read2_b64 v[14:17], v113 offset0:192 offset1:248
	ds_read2_b64 v[25:28], v113 offset0:80 offset1:136
	v_mul_f64 v[31:32], v[39:40], v[31:32]
	v_fma_f64 v[10:11], v[83:84], v[29:30], -v[10:11]
	s_waitcnt vmcnt(4)
	v_fma_f64 v[39:40], v[39:40], v[35:36], v[51:52]
	s_waitcnt vmcnt(3) lgkmcnt(1)
	v_mul_f64 v[51:52], v[16:17], v[63:64]
	s_waitcnt vmcnt(2) lgkmcnt(0)
	v_mul_f64 v[83:84], v[25:26], v[67:68]
	v_mul_f64 v[63:64], v[47:48], v[63:64]
	;; [unrolled: 1-line block ×4, first 2 shown]
	v_fma_f64 v[79:80], v[79:80], v[35:36], -v[31:32]
	v_mul_f64 v[35:36], v[45:46], v[67:68]
	ds_read2_b64 v[29:32], v106 offset0:48 offset1:104
	v_fma_f64 v[91:92], v[47:48], v[61:62], v[51:52]
	v_fma_f64 v[51:52], v[21:22], v[65:66], v[83:84]
	v_fma_f64 v[47:48], v[16:17], v[61:62], -v[63:64]
	v_fma_f64 v[61:62], v[25:26], v[65:66], -v[87:88]
	s_waitcnt lgkmcnt(0)
	v_mul_f64 v[16:17], v[29:30], v[67:68]
	v_mul_f64 v[21:22], v[31:32], v[33:34]
	v_fma_f64 v[35:36], v[14:15], v[65:66], -v[35:36]
	v_mul_f64 v[14:15], v[53:54], v[67:68]
	v_mul_f64 v[25:26], v[55:56], v[33:34]
	v_add_f64 v[63:64], v[51:52], v[37:38]
	s_waitcnt vmcnt(1)
	v_mul_f64 v[33:34], v[27:28], v[71:72]
	v_add_f64 v[67:68], v[4:5], v[51:52]
	v_fma_f64 v[45:46], v[45:46], v[65:66], v[81:82]
	v_fma_f64 v[53:54], v[53:54], v[65:66], v[16:17]
	v_mul_f64 v[16:17], v[23:24], v[71:72]
	v_fma_f64 v[29:30], v[29:30], v[65:66], -v[14:15]
	v_fma_f64 v[55:56], v[55:56], v[69:70], v[21:22]
	v_fma_f64 v[4:5], v[63:64], -0.5, v[4:5]
	v_add_f64 v[63:64], v[61:62], -v[49:50]
	s_waitcnt vmcnt(0)
	v_fma_f64 v[33:34], v[23:24], v[18:19], v[33:34]
	v_add_f64 v[65:66], v[67:68], v[37:38]
	v_fma_f64 v[31:32], v[31:32], v[69:70], -v[25:26]
	v_lshrrev_b32_e32 v69, 4, v108
	v_mul_u32_u24_e32 v69, 48, v69
	v_or_b32_e32 v71, v69, v93
	v_lshl_add_u32 v99, v71, 3, 0
	v_fma_f64 v[67:68], v[63:64], s[4:5], v[4:5]
	v_fma_f64 v[18:19], v[27:28], v[18:19], -v[16:17]
	ds_read2_b64 v[14:17], v111 offset1:56
	ds_read2_b64 v[21:24], v111 offset0:112 offset1:168
	ds_read2_b64 v[25:28], v9 offset0:96 offset1:152
	s_waitcnt lgkmcnt(0)
	; wave barrier
	s_waitcnt lgkmcnt(0)
	v_add_f64 v[69:70], v[33:34], v[39:40]
	v_fma_f64 v[4:5], v[63:64], s[6:7], v[4:5]
	v_add_f64 v[71:72], v[23:24], v[47:48]
	ds_write2_b64 v99, v[65:66], v[67:68] offset1:16
	v_add_f64 v[65:66], v[61:62], v[49:50]
	v_add_f64 v[67:68], v[18:19], v[79:80]
	;; [unrolled: 1-line block ×4, first 2 shown]
	v_fma_f64 v[63:64], v[69:70], -0.5, v[6:7]
	v_add_f64 v[6:7], v[6:7], v[33:34]
	v_add_f64 v[69:70], v[18:19], -v[79:80]
	v_add_f64 v[18:19], v[16:17], v[18:19]
	v_fma_f64 v[65:66], v[65:66], -0.5, v[14:15]
	v_add_f64 v[14:15], v[45:46], v[89:90]
	v_fma_f64 v[67:68], v[67:68], -0.5, v[16:17]
	ds_write_b64 v99, v[4:5] offset:256
	v_add_f64 v[61:62], v[61:62], v[49:50]
	v_add_f64 v[4:5], v[6:7], v[39:40]
	v_fma_f64 v[6:7], v[69:70], s[4:5], v[63:64]
	v_fma_f64 v[16:17], v[69:70], s[6:7], v[63:64]
	v_add_f64 v[63:64], v[41:42], v[45:46]
	v_fma_f64 v[14:15], v[14:15], -0.5, v[41:42]
	v_add_f64 v[41:42], v[35:36], -v[73:74]
	v_lshrrev_b32_e32 v69, 4, v110
	v_mul_u32_u24_e32 v69, 48, v69
	v_or_b32_e32 v69, v69, v96
	v_lshl_add_u32 v104, v69, 3, 0
	ds_write2_b64 v104, v[4:5], v[6:7] offset1:16
	ds_write_b64 v104, v[16:17] offset:256
	v_add_f64 v[4:5], v[63:64], v[89:90]
	v_lshrrev_b32_e32 v63, 4, v109
	v_fma_f64 v[6:7], v[41:42], s[4:5], v[14:15]
	v_mul_u32_u24_e32 v63, 48, v63
	v_add_f64 v[16:17], v[91:92], v[85:86]
	v_or_b32_e32 v69, v63, v93
	v_lshl_add_u32 v105, v69, 3, 0
	v_add_f64 v[63:64], v[35:36], v[73:74]
	v_add_f64 v[69:70], v[47:48], v[75:76]
	;; [unrolled: 1-line block ×3, first 2 shown]
	ds_write2_b64 v105, v[4:5], v[6:7] offset1:16
	v_fma_f64 v[4:5], v[41:42], s[6:7], v[14:15]
	v_fma_f64 v[6:7], v[16:17], -0.5, v[43:44]
	v_add_f64 v[14:15], v[43:44], v[91:92]
	v_add_f64 v[16:17], v[47:48], -v[75:76]
	v_add_f64 v[42:43], v[21:22], v[35:36]
	v_fma_f64 v[63:64], v[63:64], -0.5, v[21:22]
	v_lshrrev_b32_e32 v21, 4, v20
	v_fma_f64 v[69:70], v[69:70], -0.5, v[23:24]
	ds_write_b64 v105, v[4:5] offset:256
	v_add_f64 v[4:5], v[53:54], v[57:58]
	v_mul_u32_u24_e32 v23, 48, v21
	v_add_f64 v[14:15], v[14:15], v[85:86]
	v_fma_f64 v[21:22], v[16:17], s[4:5], v[6:7]
	v_fma_f64 v[6:7], v[16:17], s[6:7], v[6:7]
	v_or_b32_e32 v16, v23, v94
	v_lshl_add_u32 v114, v16, 3, 0
	v_add_f64 v[16:17], v[0:1], v[53:54]
	v_fma_f64 v[0:1], v[4:5], -0.5, v[0:1]
	v_add_f64 v[4:5], v[29:30], -v[77:78]
	ds_write2_b64 v114, v[14:15], v[21:22] offset1:16
	ds_write_b64 v114, v[6:7] offset:256
	v_lshrrev_b32_e32 v6, 4, v12
	v_mul_u32_u24_e32 v6, 48, v6
	v_add_f64 v[23:24], v[55:56], v[59:60]
	v_or_b32_e32 v41, v6, v93
	v_add_f64 v[6:7], v[16:17], v[57:58]
	v_fma_f64 v[14:15], v[4:5], s[4:5], v[0:1]
	v_lshl_add_u32 v115, v41, 3, 0
	v_add_f64 v[35:36], v[31:32], -v[10:11]
	v_fma_f64 v[0:1], v[4:5], s[6:7], v[0:1]
	v_add_f64 v[47:48], v[51:52], -v[37:38]
	v_fma_f64 v[16:17], v[23:24], -0.5, v[2:3]
	v_add_f64 v[2:3], v[2:3], v[55:56]
	v_add_f64 v[21:22], v[29:30], v[77:78]
	ds_write2_b64 v115, v[6:7], v[14:15] offset1:16
	v_lshrrev_b32_e32 v6, 4, v13
	v_mul_u32_u24_e32 v6, 48, v6
	v_or_b32_e32 v6, v6, v95
	v_add_f64 v[95:96], v[33:34], -v[39:40]
	v_add_f64 v[23:24], v[31:32], v[10:11]
	v_add_f64 v[2:3], v[2:3], v[59:60]
	v_fma_f64 v[4:5], v[35:36], s[4:5], v[16:17]
	ds_write_b64 v115, v[0:1] offset:256
	v_fma_f64 v[0:1], v[35:36], s[6:7], v[16:17]
	v_fma_f64 v[97:98], v[47:48], s[6:7], v[65:66]
	;; [unrolled: 1-line block ×4, first 2 shown]
	v_add_f64 v[44:45], v[45:46], -v[89:90]
	v_fma_f64 v[83:84], v[21:22], -0.5, v[25:26]
	v_lshl_add_u32 v21, v6, 3, 0
	v_fma_f64 v[87:88], v[23:24], -0.5, v[27:28]
	v_add_f64 v[93:94], v[27:28], v[31:32]
	ds_write2_b64 v21, v[2:3], v[4:5] offset1:16
	ds_write_b64 v21, v[0:1] offset:256
	s_waitcnt lgkmcnt(0)
	; wave barrier
	s_waitcnt lgkmcnt(0)
	ds_read2_b64 v[22:25], v111 offset1:56
	ds_read2_b64 v[0:3], v113 offset0:80 offset1:136
	ds_read2_b64 v[14:17], v106 offset0:160 offset1:216
	;; [unrolled: 1-line block ×8, first 2 shown]
	s_waitcnt lgkmcnt(0)
	; wave barrier
	s_waitcnt lgkmcnt(0)
	ds_write2_b64 v99, v[61:62], v[97:98] offset1:16
	ds_write_b64 v99, v[65:66] offset:256
	ds_write2_b64 v104, v[18:19], v[79:80] offset1:16
	v_add_f64 v[18:19], v[91:92], -v[85:86]
	v_add_f64 v[52:53], v[53:54], -v[57:58]
	;; [unrolled: 1-line block ×3, first 2 shown]
	v_fma_f64 v[46:47], v[95:96], s[4:5], v[67:68]
	v_add_f64 v[42:43], v[42:43], v[73:74]
	v_fma_f64 v[57:58], v[44:45], s[6:7], v[63:64]
	v_fma_f64 v[44:45], v[44:45], s[4:5], v[63:64]
	v_add_f64 v[59:60], v[71:72], v[75:76]
	v_fma_f64 v[61:62], v[18:19], s[6:7], v[69:70]
	;; [unrolled: 3-line block ×4, first 2 shown]
	v_fma_f64 v[54:55], v[54:55], s[4:5], v[87:88]
	ds_write_b64 v104, v[46:47] offset:256
	ds_write2_b64 v105, v[42:43], v[57:58] offset1:16
	ds_write_b64 v105, v[44:45] offset:256
	ds_write2_b64 v114, v[59:60], v[61:62] offset1:16
	ds_write_b64 v114, v[18:19] offset:256
	ds_write2_b64 v115, v[63:64], v[65:66] offset1:16
	ds_write_b64 v115, v[52:53] offset:256
	ds_write2_b64 v21, v[10:11], v[67:68] offset1:16
	ds_write_b64 v21, v[54:55] offset:256
	v_subrev_u32_e32 v10, 48, v108
	v_cndmask_b32_e64 v104, v10, v108, s[0:1]
	v_lshlrev_b32_e32 v10, 1, v104
	v_mov_b32_e32 v11, 0
	v_lshlrev_b64 v[10:11], 4, v[10:11]
	v_mov_b32_e32 v18, s9
	v_add_co_u32_e64 v10, s[0:1], s8, v10
	v_addc_co_u32_e64 v11, s[0:1], v18, v11, s[0:1]
	s_waitcnt lgkmcnt(0)
	; wave barrier
	s_waitcnt lgkmcnt(0)
	global_load_dwordx4 v[42:45], v[10:11], off offset:736
	s_movk_i32 s0, 0xab
	v_mul_lo_u16_sdwa v18, v110, s0 dst_sel:DWORD dst_unused:UNUSED_PAD src0_sel:BYTE_0 src1_sel:DWORD
	v_lshrrev_b16_e32 v105, 13, v18
	v_mul_lo_u16_e32 v18, 48, v105
	v_sub_u16_e32 v126, v110, v18
	v_mov_b32_e32 v46, 5
	v_lshlrev_b32_sdwa v18, v46, v126 dst_sel:DWORD dst_unused:UNUSED_PAD src0_sel:DWORD src1_sel:BYTE_0
	global_load_dwordx4 v[52:55], v18, s[8:9] offset:736
	global_load_dwordx4 v[56:59], v[10:11], off offset:752
	global_load_dwordx4 v[68:71], v18, s[8:9] offset:752
	v_mul_lo_u16_sdwa v10, v109, s0 dst_sel:DWORD dst_unused:UNUSED_PAD src0_sel:BYTE_0 src1_sel:DWORD
	v_mul_lo_u16_sdwa v11, v20, s0 dst_sel:DWORD dst_unused:UNUSED_PAD src0_sel:BYTE_0 src1_sel:DWORD
	s_mov_b32 s0, 0xaaab
	v_mul_u32_u24_sdwa v18, v13, s0 dst_sel:DWORD dst_unused:UNUSED_PAD src0_sel:WORD_0 src1_sel:DWORD
	v_lshrrev_b16_e32 v127, 13, v10
	v_lshrrev_b32_e32 v130, 21, v18
	v_mul_lo_u16_e32 v10, 48, v127
	v_mul_lo_u16_e32 v18, 48, v130
	v_sub_u16_e32 v128, v109, v10
	v_lshrrev_b16_e32 v129, 13, v11
	v_sub_u16_e32 v131, v13, v18
	v_lshlrev_b32_sdwa v10, v46, v128 dst_sel:DWORD dst_unused:UNUSED_PAD src0_sel:DWORD src1_sel:BYTE_0
	v_mul_lo_u16_e32 v11, 48, v129
	v_lshlrev_b32_e32 v13, 5, v131
	global_load_dwordx4 v[82:85], v10, s[8:9] offset:736
	global_load_dwordx4 v[88:91], v13, s[8:9] offset:736
	v_sub_u16_e32 v132, v20, v11
	global_load_dwordx4 v[18:21], v13, s[8:9] offset:752
	v_lshlrev_b32_sdwa v11, v46, v132 dst_sel:DWORD dst_unused:UNUSED_PAD src0_sel:DWORD src1_sel:BYTE_0
	global_load_dwordx4 v[92:95], v11, s[8:9] offset:736
	global_load_dwordx4 v[96:99], v10, s[8:9] offset:752
	;; [unrolled: 1-line block ×3, first 2 shown]
	v_mul_u32_u24_sdwa v10, v12, s0 dst_sel:DWORD dst_unused:UNUSED_PAD src0_sel:WORD_0 src1_sel:DWORD
	v_lshrrev_b32_e32 v133, 21, v10
	v_mul_lo_u16_e32 v10, 48, v133
	v_sub_u16_e32 v134, v12, v10
	v_lshlrev_b32_e32 v46, 5, v134
	global_load_dwordx4 v[10:13], v46, s[8:9] offset:736
	global_load_dwordx4 v[118:121], v46, s[8:9] offset:752
	ds_read2_b64 v[62:65], v113 offset0:80 offset1:136
	ds_read2_b64 v[122:125], v112 offset0:16 offset1:72
	v_cmp_lt_u32_e64 s[0:1], 47, v108
	s_waitcnt vmcnt(11) lgkmcnt(1)
	v_mul_f64 v[60:61], v[62:63], v[44:45]
	v_mul_f64 v[72:73], v[0:1], v[44:45]
	ds_read2_b64 v[44:47], v106 offset0:160 offset1:216
	s_waitcnt vmcnt(10)
	v_mul_f64 v[74:75], v[64:65], v[54:55]
	v_mul_f64 v[54:55], v[2:3], v[54:55]
	v_fma_f64 v[66:67], v[0:1], v[42:43], v[60:61]
	s_waitcnt vmcnt(9) lgkmcnt(0)
	v_mul_f64 v[60:61], v[44:45], v[58:59]
	v_fma_f64 v[72:73], v[62:63], v[42:43], -v[72:73]
	s_waitcnt vmcnt(8)
	v_mul_f64 v[42:43], v[46:47], v[70:71]
	v_mul_f64 v[58:59], v[14:15], v[58:59]
	v_fma_f64 v[62:63], v[2:3], v[52:53], v[74:75]
	v_mul_f64 v[74:75], v[16:17], v[70:71]
	ds_read2_b64 v[0:3], v113 offset0:192 offset1:248
	v_fma_f64 v[78:79], v[64:65], v[52:53], -v[54:55]
	v_fma_f64 v[80:81], v[14:15], v[56:57], v[60:61]
	ds_read2_b64 v[52:55], v106 offset0:48 offset1:104
	v_fma_f64 v[70:71], v[16:17], v[68:69], v[42:43]
	ds_read2_b64 v[14:17], v112 offset0:128 offset1:184
	v_fma_f64 v[64:65], v[44:45], v[56:57], -v[58:59]
	s_waitcnt vmcnt(7) lgkmcnt(2)
	v_mul_f64 v[44:45], v[0:1], v[84:85]
	v_fma_f64 v[68:69], v[46:47], v[68:69], -v[74:75]
	s_waitcnt vmcnt(6) lgkmcnt(1)
	v_mul_f64 v[46:47], v[54:55], v[90:91]
	s_waitcnt vmcnt(5) lgkmcnt(0)
	v_mul_f64 v[56:57], v[16:17], v[20:21]
	v_mul_f64 v[42:43], v[30:31], v[84:85]
	s_waitcnt vmcnt(4)
	v_mul_f64 v[58:59], v[32:33], v[94:95]
	v_mul_f64 v[20:21], v[50:51], v[20:21]
	s_waitcnt vmcnt(3)
	v_mul_f64 v[76:77], v[122:123], v[98:99]
	v_fma_f64 v[74:75], v[30:31], v[82:83], v[44:45]
	v_mul_f64 v[30:31], v[2:3], v[94:95]
	v_fma_f64 v[44:45], v[40:41], v[88:89], v[46:47]
	;; [unrolled: 2-line block ×3, first 2 shown]
	v_fma_f64 v[84:85], v[0:1], v[82:83], -v[42:43]
	v_fma_f64 v[60:61], v[2:3], v[92:93], -v[58:59]
	;; [unrolled: 1-line block ×3, first 2 shown]
	s_waitcnt vmcnt(2)
	v_mul_f64 v[16:17], v[36:37], v[116:117]
	v_mul_f64 v[94:95], v[34:35], v[98:99]
	v_fma_f64 v[56:57], v[32:33], v[92:93], v[30:31]
	v_fma_f64 v[58:59], v[54:55], v[88:89], -v[40:41]
	v_add_f64 v[0:1], v[44:45], v[46:47]
	v_fma_f64 v[86:87], v[34:35], v[96:97], v[76:77]
	v_mul_f64 v[2:3], v[124:125], v[116:117]
	s_waitcnt vmcnt(1)
	v_mul_f64 v[18:19], v[52:53], v[12:13]
	v_mul_f64 v[12:13], v[38:39], v[12:13]
	s_waitcnt vmcnt(0)
	v_mul_f64 v[30:31], v[48:49], v[120:121]
	v_fma_f64 v[88:89], v[124:125], v[114:115], -v[16:17]
	v_add_f64 v[34:35], v[58:59], -v[82:83]
	v_fma_f64 v[32:33], v[0:1], -0.5, v[6:7]
	v_add_f64 v[16:17], v[66:67], v[80:81]
	v_fma_f64 v[76:77], v[122:123], v[96:97], -v[94:95]
	v_fma_f64 v[92:93], v[36:37], v[114:115], v[2:3]
	v_fma_f64 v[90:91], v[38:39], v[10:11], v[18:19]
	v_fma_f64 v[98:99], v[52:53], v[10:11], -v[12:13]
	v_fma_f64 v[94:95], v[14:15], v[118:119], -v[30:31]
	v_add_f64 v[10:11], v[22:23], v[66:67]
	v_fma_f64 v[0:1], v[34:35], s[4:5], v[32:33]
	v_fma_f64 v[2:3], v[34:35], s[6:7], v[32:33]
	v_fma_f64 v[30:31], v[16:17], -0.5, v[22:23]
	v_add_f64 v[32:33], v[72:73], -v[64:65]
	v_add_f64 v[34:35], v[62:63], v[70:71]
	v_mul_f64 v[20:21], v[14:15], v[120:121]
	v_mov_b32_e32 v12, 0x480
	v_add_f64 v[10:11], v[10:11], v[80:81]
	v_cndmask_b32_e64 v12, 0, v12, s[0:1]
	v_lshlrev_b32_e32 v13, 3, v104
	v_add3_u32 v114, 0, v12, v13
	v_fma_f64 v[36:37], v[32:33], s[4:5], v[30:31]
	v_fma_f64 v[30:31], v[32:33], s[6:7], v[30:31]
	v_fma_f64 v[32:33], v[34:35], -0.5, v[24:25]
	v_add_f64 v[24:25], v[24:25], v[62:63]
	v_add_f64 v[34:35], v[78:79], -v[68:69]
	v_fma_f64 v[96:97], v[48:49], v[118:119], v[20:21]
	ds_read2_b64 v[12:15], v9 offset0:96 offset1:152
	ds_read2_b64 v[20:23], v111 offset1:56
	ds_read2_b64 v[16:19], v111 offset0:112 offset1:168
	s_waitcnt lgkmcnt(0)
	; wave barrier
	s_waitcnt lgkmcnt(0)
	ds_write2_b64 v114, v[10:11], v[36:37] offset1:48
	v_add_f64 v[9:10], v[74:75], v[86:87]
	ds_write_b64 v114, v[30:31] offset:768
	v_add_f64 v[24:25], v[24:25], v[70:71]
	v_fma_f64 v[30:31], v[34:35], s[4:5], v[32:33]
	v_fma_f64 v[32:33], v[34:35], s[6:7], v[32:33]
	v_add_f64 v[34:35], v[26:27], v[74:75]
	v_mov_b32_e32 v36, 3
	v_mul_u32_u24_e32 v11, 0x480, v105
	v_fma_f64 v[9:10], v[9:10], -0.5, v[26:27]
	v_add_f64 v[26:27], v[84:85], -v[76:77]
	v_lshlrev_b32_sdwa v37, v36, v126 dst_sel:DWORD dst_unused:UNUSED_PAD src0_sel:DWORD src1_sel:BYTE_0
	v_add3_u32 v115, 0, v11, v37
	ds_write2_b64 v115, v[24:25], v[30:31] offset1:48
	ds_write_b64 v115, v[32:33] offset:768
	v_add_f64 v[24:25], v[56:57], v[92:93]
	v_add_f64 v[30:31], v[34:35], v[86:87]
	;; [unrolled: 1-line block ×3, first 2 shown]
	v_mul_u32_u24_e32 v11, 0x480, v127
	v_fma_f64 v[32:33], v[26:27], s[4:5], v[9:10]
	v_fma_f64 v[9:10], v[26:27], s[6:7], v[9:10]
	v_add_f64 v[26:27], v[28:29], v[56:57]
	v_lshlrev_b32_sdwa v37, v36, v128 dst_sel:DWORD dst_unused:UNUSED_PAD src0_sel:DWORD src1_sel:BYTE_0
	v_fma_f64 v[24:25], v[24:25], -0.5, v[28:29]
	v_add_f64 v[28:29], v[60:61], -v[88:89]
	v_add3_u32 v116, 0, v11, v37
	ds_write2_b64 v116, v[30:31], v[32:33] offset1:48
	ds_write_b64 v116, v[9:10] offset:768
	v_add_f64 v[30:31], v[98:99], -v[94:95]
	v_add_f64 v[9:10], v[26:27], v[92:93]
	v_add_f64 v[26:27], v[4:5], v[90:91]
	v_fma_f64 v[4:5], v[34:35], -0.5, v[4:5]
	v_add_f64 v[6:7], v[6:7], v[44:45]
	v_fma_f64 v[32:33], v[28:29], s[4:5], v[24:25]
	v_fma_f64 v[24:25], v[28:29], s[6:7], v[24:25]
	v_lshlrev_b32_sdwa v11, v36, v132 dst_sel:DWORD dst_unused:UNUSED_PAD src0_sel:DWORD src1_sel:BYTE_0
	v_mul_u32_u24_e32 v28, 0x480, v129
	v_add3_u32 v117, 0, v28, v11
	v_add_f64 v[26:27], v[26:27], v[96:97]
	v_fma_f64 v[28:29], v[30:31], s[4:5], v[4:5]
	v_fma_f64 v[4:5], v[30:31], s[6:7], v[4:5]
	v_add_f64 v[6:7], v[6:7], v[46:47]
	ds_write2_b64 v117, v[9:10], v[32:33] offset1:48
	ds_write_b64 v117, v[24:25] offset:768
	v_mul_u32_u24_e32 v9, 0x480, v133
	v_lshlrev_b32_e32 v10, 3, v134
	v_add3_u32 v118, 0, v9, v10
	v_mul_u32_u24_e32 v9, 0x480, v130
	v_lshlrev_b32_e32 v10, 3, v131
	ds_write2_b64 v118, v[26:27], v[28:29] offset1:48
	v_add3_u32 v119, 0, v9, v10
	ds_write_b64 v118, v[4:5] offset:768
	ds_write2_b64 v119, v[6:7], v[0:1] offset1:48
	ds_write_b64 v119, v[2:3] offset:768
	s_waitcnt lgkmcnt(0)
	; wave barrier
	s_waitcnt lgkmcnt(0)
	ds_read2_b64 v[24:27], v111 offset1:56
	ds_read2_b64 v[28:31], v111 offset0:144 offset1:200
	ds_read2_b64 v[48:51], v113 offset0:32 offset1:88
	;; [unrolled: 1-line block ×6, first 2 shown]
	v_cmp_gt_u32_e64 s[0:1], 32, v108
                                        ; implicit-def: $vgpr104_vgpr105
                                        ; implicit-def: $vgpr10_vgpr11
	s_and_saveexec_b64 s[10:11], s[0:1]
	s_cbranch_execz .LBB0_15
; %bb.14:
	v_add_u32_e32 v0, 0x200, v111
	ds_read2_b64 v[4:7], v0 offset0:48 offset1:192
	ds_read2_b64 v[0:3], v8 offset0:16 offset1:160
	;; [unrolled: 1-line block ×3, first 2 shown]
	ds_read_b64 v[104:105], v111 offset:7808
.LBB0_15:
	s_or_b64 exec, exec, s[10:11]
	v_add_f64 v[120:121], v[72:73], v[64:65]
	v_add_f64 v[122:123], v[78:79], v[68:69]
	v_add_f64 v[66:67], v[66:67], -v[80:81]
	v_add_f64 v[80:81], v[84:85], v[76:77]
	v_add_f64 v[78:79], v[22:23], v[78:79]
	;; [unrolled: 1-line block ×3, first 2 shown]
	v_add_f64 v[62:63], v[62:63], -v[70:71]
	v_add_f64 v[70:71], v[16:17], v[84:85]
	v_fma_f64 v[20:21], v[120:121], -0.5, v[20:21]
	v_fma_f64 v[22:23], v[122:123], -0.5, v[22:23]
	v_add_f64 v[74:75], v[74:75], -v[86:87]
	v_fma_f64 v[16:17], v[80:81], -0.5, v[16:17]
	v_add_f64 v[68:69], v[78:79], v[68:69]
	v_add_f64 v[78:79], v[60:61], v[88:89]
	;; [unrolled: 1-line block ×4, first 2 shown]
	v_fma_f64 v[72:73], v[66:67], s[6:7], v[20:21]
	v_fma_f64 v[20:21], v[66:67], s[4:5], v[20:21]
	;; [unrolled: 1-line block ×4, first 2 shown]
	v_add_f64 v[62:63], v[70:71], v[76:77]
	v_add_f64 v[70:71], v[98:99], v[94:95]
	v_fma_f64 v[76:77], v[74:75], s[6:7], v[16:17]
	v_fma_f64 v[74:75], v[74:75], s[4:5], v[16:17]
	v_add_f64 v[16:17], v[58:59], v[82:83]
	v_fma_f64 v[18:19], v[78:79], -0.5, v[18:19]
	v_add_f64 v[56:57], v[56:57], -v[92:93]
	v_add_f64 v[78:79], v[12:13], v[98:99]
	v_add_f64 v[58:59], v[14:15], v[58:59]
	v_fma_f64 v[12:13], v[70:71], -0.5, v[12:13]
	v_add_f64 v[70:71], v[90:91], -v[96:97]
	v_add_f64 v[44:45], v[44:45], -v[46:47]
	v_fma_f64 v[80:81], v[16:17], -0.5, v[14:15]
	v_add_f64 v[46:47], v[60:61], v[88:89]
	v_fma_f64 v[60:61], v[56:57], s[6:7], v[18:19]
	v_fma_f64 v[56:57], v[56:57], s[4:5], v[18:19]
	v_add_f64 v[78:79], v[78:79], v[94:95]
	v_add_f64 v[14:15], v[58:59], v[82:83]
	v_fma_f64 v[84:85], v[70:71], s[6:7], v[12:13]
	v_fma_f64 v[12:13], v[70:71], s[4:5], v[12:13]
	;; [unrolled: 1-line block ×4, first 2 shown]
	s_waitcnt lgkmcnt(0)
	; wave barrier
	s_waitcnt lgkmcnt(0)
	ds_write2_b64 v114, v[64:65], v[72:73] offset1:48
	ds_write_b64 v114, v[20:21] offset:768
	ds_write2_b64 v115, v[68:69], v[66:67] offset1:48
	ds_write_b64 v115, v[22:23] offset:768
	;; [unrolled: 2-line block ×6, first 2 shown]
	s_waitcnt lgkmcnt(0)
	; wave barrier
	s_waitcnt lgkmcnt(0)
	ds_read2_b64 v[44:47], v111 offset1:56
	ds_read2_b64 v[68:71], v111 offset0:144 offset1:200
	ds_read2_b64 v[64:67], v113 offset0:32 offset1:88
	;; [unrolled: 1-line block ×6, first 2 shown]
                                        ; implicit-def: $vgpr106_vgpr107
                                        ; implicit-def: $vgpr22_vgpr23
	s_and_saveexec_b64 s[4:5], s[0:1]
	s_cbranch_execz .LBB0_17
; %bb.16:
	v_add_u32_e32 v12, 0x200, v111
	v_add_u32_e32 v16, 0xc00, v111
	;; [unrolled: 1-line block ×3, first 2 shown]
	ds_read2_b64 v[12:15], v12 offset0:48 offset1:192
	ds_read2_b64 v[16:19], v16 offset0:16 offset1:160
	;; [unrolled: 1-line block ×3, first 2 shown]
	ds_read_b64 v[106:107], v111 offset:7808
.LBB0_17:
	s_or_b64 exec, exec, s[4:5]
	s_and_saveexec_b64 s[4:5], vcc
	s_cbranch_execz .LBB0_20
; %bb.18:
	v_mul_u32_u24_e32 v80, 6, v110
	v_lshlrev_b32_e32 v110, 4, v80
	global_load_dwordx4 v[84:87], v110, s[8:9] offset:2352
	global_load_dwordx4 v[80:83], v110, s[8:9] offset:2272
	;; [unrolled: 1-line block ×5, first 2 shown]
	v_mul_u32_u24_e32 v114, 6, v108
	global_load_dwordx4 v[110:113], v110, s[8:9] offset:2320
	v_lshlrev_b32_e32 v134, 4, v114
	global_load_dwordx4 v[114:117], v134, s[8:9] offset:2336
	global_load_dwordx4 v[118:121], v134, s[8:9] offset:2288
	;; [unrolled: 1-line block ×5, first 2 shown]
	s_nop 0
	global_load_dwordx4 v[134:137], v134, s[8:9] offset:2304
	v_mul_lo_u32 v138, s3, v102
	v_mul_lo_u32 v139, s2, v103
	v_mad_u64_u32 v[102:103], s[2:3], s2, v102, 0
	s_mov_b32 s20, 0x37e14327
	s_mov_b32 s21, 0x3fe948f6
	v_add3_u32 v103, v103, v139, v138
	s_mov_b32 s12, 0x36b3c0b5
	s_mov_b32 s10, 0x5476071b
	;; [unrolled: 1-line block ×19, first 2 shown]
	s_movk_i32 s27, 0x90
	s_waitcnt vmcnt(11) lgkmcnt(0)
	v_mul_f64 v[138:139], v[78:79], v[86:87]
	v_mul_f64 v[86:87], v[38:39], v[86:87]
	s_waitcnt vmcnt(10)
	v_mul_f64 v[140:141], v[70:71], v[82:83]
	v_mul_f64 v[82:83], v[30:31], v[82:83]
	s_waitcnt vmcnt(9)
	;; [unrolled: 3-line block ×6, first 2 shown]
	v_mul_f64 v[150:151], v[72:73], v[116:117]
	s_waitcnt vmcnt(4)
	v_mul_f64 v[152:153], v[64:65], v[120:121]
	v_fma_f64 v[38:39], v[38:39], v[84:85], v[138:139]
	v_fma_f64 v[78:79], v[78:79], v[84:85], -v[86:87]
	v_fma_f64 v[30:31], v[30:31], v[80:81], v[140:141]
	v_fma_f64 v[70:71], v[70:71], v[80:81], -v[82:83]
	;; [unrolled: 2-line block ×6, first 2 shown]
	v_mul_f64 v[116:117], v[52:53], v[116:117]
	v_mul_f64 v[120:121], v[48:49], v[120:121]
	v_fma_f64 v[80:81], v[52:53], v[114:115], v[150:151]
	v_fma_f64 v[82:83], v[48:49], v[118:119], v[152:153]
	v_add_f64 v[48:49], v[30:31], -v[38:39]
	v_add_f64 v[84:85], v[50:51], -v[54:55]
	;; [unrolled: 1-line block ×3, first 2 shown]
	v_add_f64 v[86:87], v[70:71], v[78:79]
	v_add_f64 v[88:89], v[66:67], v[74:75]
	;; [unrolled: 1-line block ×6, first 2 shown]
	v_add_f64 v[42:43], v[70:71], -v[78:79]
	v_add_f64 v[50:51], v[62:63], -v[58:59]
	;; [unrolled: 1-line block ×5, first 2 shown]
	v_add_f64 v[52:53], v[52:53], v[84:85]
	v_add_f64 v[66:67], v[86:87], v[88:89]
	v_add_f64 v[70:71], v[86:87], -v[90:91]
	v_add_f64 v[78:79], v[30:31], v[38:39]
	v_add_f64 v[74:75], v[90:91], -v[88:89]
	v_add_f64 v[92:93], v[30:31], -v[34:35]
	;; [unrolled: 1-line block ×5, first 2 shown]
	v_add_f64 v[52:53], v[48:49], v[52:53]
	v_add_f64 v[66:67], v[90:91], v[66:67]
	v_mul_f64 v[48:49], v[70:71], s[20:21]
	v_add_f64 v[34:35], v[34:35], v[78:79]
	v_add_f64 v[30:31], v[38:39], -v[30:31]
	v_add_f64 v[38:39], v[42:43], -v[50:51]
	v_add_f64 v[94:95], v[50:51], v[54:55]
	v_add_f64 v[50:51], v[50:51], -v[54:55]
	v_add_f64 v[54:55], v[54:55], -v[42:43]
	v_mul_f64 v[74:75], v[74:75], s[12:13]
	v_mul_f64 v[90:91], v[92:93], s[20:21]
	;; [unrolled: 1-line block ×3, first 2 shown]
	v_fma_f64 v[96:97], v[86:87], s[10:11], -v[48:49]
	v_add_f64 v[48:49], v[46:47], v[66:67]
	v_add_f64 v[46:47], v[26:27], v[34:35]
	s_waitcnt vmcnt(3)
	v_mul_f64 v[154:155], v[36:37], v[124:125]
	s_waitcnt vmcnt(2)
	v_mul_f64 v[156:157], v[28:29], v[128:129]
	v_mul_f64 v[128:129], v[68:69], v[128:129]
	;; [unrolled: 1-line block ×3, first 2 shown]
	s_waitcnt vmcnt(1)
	v_mul_f64 v[158:159], v[60:61], v[132:133]
	s_waitcnt vmcnt(0)
	v_mul_f64 v[160:161], v[56:57], v[136:137]
	v_mul_f64 v[62:63], v[62:63], s[18:19]
	v_add_f64 v[42:43], v[42:43], v[94:95]
	v_mul_f64 v[78:79], v[84:85], s[6:7]
	v_mul_f64 v[50:51], v[50:51], s[18:19]
	;; [unrolled: 1-line block ×3, first 2 shown]
	v_fma_f64 v[70:71], v[70:71], s[20:21], v[74:75]
	v_fma_f64 v[26:27], v[86:87], s[16:17], -v[74:75]
	v_fma_f64 v[66:67], v[66:67], s[22:23], v[48:49]
	v_fma_f64 v[34:35], v[34:35], s[22:23], v[46:47]
	v_fma_f64 v[86:87], v[30:31], s[10:11], -v[90:91]
	v_fma_f64 v[30:31], v[30:31], s[16:17], -v[88:89]
	;; [unrolled: 1-line block ×3, first 2 shown]
	v_fma_f64 v[58:59], v[58:59], s[2:3], v[62:63]
	v_fma_f64 v[62:63], v[84:85], s[6:7], -v[62:63]
	v_fma_f64 v[78:79], v[92:93], s[20:21], v[88:89]
	v_fma_f64 v[84:85], v[38:39], s[2:3], v[50:51]
	v_fma_f64 v[38:39], v[38:39], s[4:5], -v[94:95]
	v_fma_f64 v[54:55], v[54:55], s[6:7], -v[50:51]
	v_add_f64 v[70:71], v[70:71], v[66:67]
	v_add_f64 v[88:89], v[96:97], v[66:67]
	;; [unrolled: 1-line block ×4, first 2 shown]
	v_fma_f64 v[90:91], v[32:33], v[130:131], v[158:159]
	v_fma_f64 v[92:93], v[40:41], v[134:135], v[160:161]
	v_mul_f64 v[30:31], v[40:41], v[136:137]
	v_mul_f64 v[32:33], v[32:33], v[132:133]
	v_fma_f64 v[28:29], v[28:29], v[126:127], v[128:129]
	v_fma_f64 v[40:41], v[36:37], v[122:123], v[124:125]
	v_fma_f64 v[76:77], v[76:77], v[122:123], -v[154:155]
	v_fma_f64 v[68:69], v[68:69], v[126:127], -v[156:157]
	;; [unrolled: 1-line block ×3, first 2 shown]
	v_fma_f64 v[84:85], v[42:43], s[24:25], v[84:85]
	v_fma_f64 v[74:75], v[52:53], s[24:25], v[74:75]
	;; [unrolled: 1-line block ×4, first 2 shown]
	v_fma_f64 v[42:43], v[64:65], v[118:119], -v[120:121]
	v_add_f64 v[96:97], v[82:83], -v[80:81]
	v_fma_f64 v[112:113], v[56:57], v[134:135], -v[30:31]
	v_fma_f64 v[60:61], v[60:61], v[130:131], -v[32:33]
	v_add_f64 v[114:115], v[28:29], -v[40:41]
	v_add_f64 v[28:29], v[28:29], v[40:41]
	v_add_f64 v[80:81], v[82:83], v[80:81]
	v_add_f64 v[64:65], v[90:91], -v[92:93]
	v_add_f64 v[98:99], v[68:69], v[76:77]
	v_add_f64 v[110:111], v[42:43], v[72:73]
	;; [unrolled: 1-line block ×4, first 2 shown]
	v_add_f64 v[56:57], v[88:89], -v[74:75]
	v_add_f64 v[82:83], v[90:91], v[92:93]
	v_add_f64 v[74:75], v[28:29], v[80:81]
	v_fma_f64 v[62:63], v[52:53], s[24:25], v[62:63]
	v_add_f64 v[86:87], v[86:87], v[34:35]
	v_add_f64 v[54:55], v[64:65], -v[96:97]
	v_add_f64 v[116:117], v[98:99], v[110:111]
	v_add_f64 v[60:61], v[60:61], -v[112:113]
	v_add_f64 v[72:73], v[42:43], -v[72:73]
	;; [unrolled: 1-line block ×3, first 2 shown]
	v_add_f64 v[74:75], v[82:83], v[74:75]
	v_add_f64 v[90:91], v[82:83], -v[80:81]
	v_add_f64 v[68:69], v[68:69], -v[76:77]
	v_add_f64 v[78:79], v[78:79], v[34:35]
	v_add_f64 v[30:31], v[86:87], -v[94:95]
	v_add_f64 v[36:37], v[26:27], -v[62:63]
	v_add_f64 v[34:35], v[38:39], v[66:67]
	v_add_f64 v[40:41], v[62:63], v[26:27]
	v_add_f64 v[26:27], v[114:115], -v[64:65]
	v_mul_f64 v[62:63], v[54:55], s[18:19]
	v_add_f64 v[38:39], v[66:67], -v[38:39]
	v_add_f64 v[66:67], v[118:119], v[116:117]
	v_add_f64 v[54:55], v[94:95], v[86:87]
	;; [unrolled: 1-line block ×3, first 2 shown]
	v_add_f64 v[88:89], v[98:99], -v[118:119]
	v_add_f64 v[76:77], v[60:61], -v[72:73]
	v_mul_f64 v[94:95], v[42:43], s[12:13]
	v_add_f64 v[42:43], v[24:25], v[74:75]
	v_add_f64 v[24:25], v[28:29], -v[82:83]
	v_mul_f64 v[82:83], v[90:91], s[12:13]
	v_add_f64 v[90:91], v[68:69], -v[60:61]
	v_add_f64 v[60:61], v[60:61], v[72:73]
	v_add_f64 v[96:97], v[96:97], -v[114:115]
	v_add_f64 v[72:73], v[72:73], -v[68:69]
	v_add_f64 v[44:45], v[44:45], v[66:67]
	v_mul_f64 v[92:93], v[88:89], s[20:21]
	v_mul_f64 v[76:77], v[76:77], s[18:19]
	v_add_f64 v[98:99], v[110:111], -v[98:99]
	v_add_f64 v[28:29], v[80:81], -v[28:29]
	v_add_f64 v[60:61], v[68:69], v[60:61]
	v_mul_f64 v[68:69], v[96:97], s[6:7]
	v_mul_f64 v[80:81], v[72:73], s[6:7]
	;; [unrolled: 1-line block ×3, first 2 shown]
	v_fma_f64 v[86:87], v[26:27], s[2:3], v[62:63]
	v_add_f64 v[64:65], v[114:115], v[64:65]
	v_fma_f64 v[66:67], v[66:67], s[22:23], v[44:45]
	v_fma_f64 v[74:75], v[74:75], s[22:23], v[42:43]
	;; [unrolled: 1-line block ×4, first 2 shown]
	v_fma_f64 v[26:27], v[26:27], s[4:5], -v[68:69]
	v_fma_f64 v[68:69], v[98:99], s[10:11], -v[92:93]
	;; [unrolled: 1-line block ×5, first 2 shown]
	v_fma_f64 v[88:89], v[88:89], s[20:21], v[94:95]
	v_fma_f64 v[92:93], v[28:29], s[10:11], -v[112:113]
	v_fma_f64 v[28:29], v[28:29], s[16:17], -v[82:83]
	;; [unrolled: 1-line block ×3, first 2 shown]
	v_fma_f64 v[58:59], v[52:53], s[24:25], v[58:59]
	v_add_f64 v[24:25], v[24:25], v[74:75]
	v_fma_f64 v[110:111], v[60:61], s[24:25], v[114:115]
	v_fma_f64 v[26:27], v[64:65], s[24:25], v[26:27]
	v_add_f64 v[82:83], v[68:69], v[66:67]
	v_fma_f64 v[94:95], v[60:61], s[24:25], v[80:81]
	v_add_f64 v[76:77], v[90:91], v[66:67]
	v_fma_f64 v[80:81], v[64:65], s[24:25], v[62:63]
	v_fma_f64 v[86:87], v[64:65], s[24:25], v[86:87]
	v_add_f64 v[88:89], v[88:89], v[66:67]
	v_add_f64 v[92:93], v[92:93], v[74:75]
	;; [unrolled: 1-line block ×3, first 2 shown]
	v_fma_f64 v[74:75], v[60:61], s[24:25], v[72:73]
	v_add_f64 v[52:53], v[58:59], v[70:71]
	v_add_f64 v[50:51], v[78:79], -v[84:85]
	v_add_f64 v[60:61], v[70:71], -v[58:59]
	v_add_f64 v[58:59], v[84:85], v[78:79]
	v_mul_hi_u32 v78, v108, s26
	v_add_f64 v[62:63], v[24:25], -v[110:111]
	v_add_f64 v[68:69], v[26:27], v[82:83]
	v_add_f64 v[72:73], v[76:77], -v[80:81]
	v_add_f64 v[76:77], v[80:81], v[76:77]
	v_add_f64 v[80:81], v[82:83], -v[26:27]
	v_lshrrev_b32_e32 v26, 5, v78
	v_add_f64 v[82:83], v[110:111], v[24:25]
	v_lshlrev_b64 v[24:25], 4, v[102:103]
	v_mul_lo_u32 v26, v26, s27
	v_add_f64 v[70:71], v[74:75], v[28:29]
	v_add_f64 v[74:75], v[28:29], -v[74:75]
	v_add_f64 v[84:85], v[88:89], -v[86:87]
	v_mov_b32_e32 v27, s15
	v_add_co_u32_e32 v28, vcc, s14, v24
	v_addc_co_u32_e32 v27, vcc, v27, v25, vcc
	v_lshlrev_b64 v[24:25], 4, v[100:101]
	v_sub_u32_e32 v26, v108, v26
	v_add_co_u32_e32 v28, vcc, v28, v24
	v_addc_co_u32_e32 v29, vcc, v27, v25, vcc
	v_lshlrev_b32_e32 v24, 4, v26
	v_add_co_u32_e32 v26, vcc, v28, v24
	v_addc_co_u32_e32 v27, vcc, 0, v29, vcc
	v_add_u32_e32 v24, 56, v108
	v_add_f64 v[78:79], v[94:95], v[92:93]
	global_store_dwordx4 v[26:27], v[42:45], off
	global_store_dwordx4 v[26:27], v[82:85], off offset:2304
	v_mul_hi_u32 v44, v24, s26
	v_add_f64 v[66:67], v[92:93], -v[94:95]
	s_movk_i32 s14, 0x1000
	v_add_f64 v[64:65], v[86:87], v[88:89]
	v_lshrrev_b32_e32 v44, 5, v44
	v_mul_lo_u32 v45, v44, s27
	v_add_co_u32_e32 v42, vcc, s14, v26
	v_addc_co_u32_e32 v43, vcc, 0, v27, vcc
	s_movk_i32 s14, 0x2000
	global_store_dwordx4 v[42:43], v[78:81], off offset:512
	global_store_dwordx4 v[42:43], v[74:77], off offset:2816
	v_add_co_u32_e32 v42, vcc, s14, v26
	v_mov_b32_e32 v25, 0
	v_addc_co_u32_e32 v43, vcc, 0, v27, vcc
	v_sub_u32_e32 v24, v24, v45
	s_movk_i32 s14, 0x3f0
	global_store_dwordx4 v[42:43], v[70:73], off offset:1024
	global_store_dwordx4 v[42:43], v[66:69], off offset:3328
	v_mad_u64_u32 v[42:43], s[14:15], v44, s14, v[24:25]
	s_movk_i32 s26, 0x3000
	v_add_co_u32_e32 v26, vcc, s26, v26
	v_addc_co_u32_e32 v27, vcc, 0, v27, vcc
	v_mov_b32_e32 v43, v25
	global_store_dwordx4 v[26:27], v[62:65], off offset:1536
	v_lshlrev_b64 v[26:27], 4, v[42:43]
	v_add_u32_e32 v24, 0x90, v42
	v_add_co_u32_e32 v26, vcc, v28, v26
	v_addc_co_u32_e32 v27, vcc, v29, v27, vcc
	global_store_dwordx4 v[26:27], v[46:49], off
	v_lshlrev_b64 v[26:27], 4, v[24:25]
	v_add_u32_e32 v24, 0x120, v42
	v_add_co_u32_e32 v26, vcc, v28, v26
	v_addc_co_u32_e32 v27, vcc, v29, v27, vcc
	global_store_dwordx4 v[26:27], v[58:61], off
	;; [unrolled: 5-line block ×6, first 2 shown]
	v_lshlrev_b64 v[26:27], 4, v[24:25]
	v_add_co_u32_e32 v26, vcc, v28, v26
	v_addc_co_u32_e32 v27, vcc, v29, v27, vcc
	global_store_dwordx4 v[26:27], v[50:53], off
	v_add_u32_e32 v26, 0x70, v108
	v_cmp_gt_u32_e32 vcc, s27, v26
	s_and_b64 exec, exec, vcc
	s_cbranch_execz .LBB0_20
; %bb.19:
	v_subrev_u32_e32 v24, 32, v108
	v_cndmask_b32_e64 v24, v24, v109, s[0:1]
	v_mul_i32_i24_e32 v24, 6, v24
	v_lshlrev_b64 v[30:31], 4, v[24:25]
	v_mov_b32_e32 v24, s9
	v_add_co_u32_e32 v54, vcc, s8, v30
	v_addc_co_u32_e32 v55, vcc, v24, v31, vcc
	global_load_dwordx4 v[30:33], v[54:55], off offset:2272
	global_load_dwordx4 v[34:37], v[54:55], off offset:2288
	;; [unrolled: 1-line block ×6, first 2 shown]
	v_mov_b32_e32 v27, v25
	v_lshlrev_b64 v[26:27], 4, v[26:27]
	v_add_u32_e32 v24, 0x100, v108
	v_add_co_u32_e32 v26, vcc, v28, v26
	v_lshlrev_b64 v[54:55], 4, v[24:25]
	v_addc_co_u32_e32 v27, vcc, v29, v27, vcc
	v_add_u32_e32 v24, 0x190, v108
	v_lshlrev_b64 v[56:57], 4, v[24:25]
	v_add_co_u32_e32 v54, vcc, v28, v54
	v_add_u32_e32 v24, 0x220, v108
	v_addc_co_u32_e32 v55, vcc, v29, v55, vcc
	v_lshlrev_b64 v[58:59], 4, v[24:25]
	v_add_co_u32_e32 v56, vcc, v28, v56
	v_add_u32_e32 v24, 0x2b0, v108
	v_addc_co_u32_e32 v57, vcc, v29, v57, vcc
	;; [unrolled: 4-line block ×3, first 2 shown]
	v_lshlrev_b64 v[62:63], 4, v[24:25]
	v_add_u32_e32 v24, 0x3d0, v108
	s_waitcnt vmcnt(5)
	v_mul_f64 v[64:65], v[14:15], v[32:33]
	v_mul_f64 v[32:33], v[6:7], v[32:33]
	s_waitcnt vmcnt(4)
	v_mul_f64 v[66:67], v[16:17], v[36:37]
	v_mul_f64 v[36:37], v[0:1], v[36:37]
	;; [unrolled: 3-line block ×4, first 2 shown]
	v_mul_f64 v[68:69], v[18:19], v[40:41]
	v_mul_f64 v[40:41], v[2:3], v[40:41]
	;; [unrolled: 1-line block ×4, first 2 shown]
	v_fma_f64 v[6:7], v[6:7], v[30:31], v[64:65]
	v_fma_f64 v[14:15], v[14:15], v[30:31], -v[32:33]
	v_fma_f64 v[0:1], v[0:1], v[34:35], v[66:67]
	v_fma_f64 v[16:17], v[16:17], v[34:35], -v[36:37]
	;; [unrolled: 2-line block ×6, first 2 shown]
	v_add_f64 v[34:35], v[6:7], v[30:31]
	v_add_f64 v[36:37], v[14:15], v[32:33]
	v_add_f64 v[6:7], v[6:7], -v[30:31]
	v_add_f64 v[14:15], v[14:15], -v[32:33]
	v_add_f64 v[30:31], v[0:1], v[10:11]
	v_add_f64 v[32:33], v[16:17], v[22:23]
	v_add_f64 v[0:1], v[0:1], -v[10:11]
	v_add_f64 v[10:11], v[16:17], -v[22:23]
	;; [unrolled: 4-line block ×4, first 2 shown]
	v_add_f64 v[34:35], v[34:35], -v[16:17]
	v_add_f64 v[36:37], v[36:37], -v[22:23]
	v_add_f64 v[30:31], v[16:17], -v[30:31]
	v_add_f64 v[32:33], v[22:23], -v[32:33]
	v_add_f64 v[42:43], v[2:3], v[0:1]
	v_add_f64 v[44:45], v[8:9], v[10:11]
	v_add_f64 v[46:47], v[2:3], -v[0:1]
	v_add_f64 v[48:49], v[8:9], -v[10:11]
	v_add_f64 v[16:17], v[16:17], v[18:19]
	v_add_f64 v[18:19], v[22:23], v[20:21]
	v_add_f64 v[52:53], v[0:1], -v[6:7]
	v_add_f64 v[10:11], v[10:11], -v[14:15]
	;; [unrolled: 1-line block ×4, first 2 shown]
	v_add_f64 v[6:7], v[42:43], v[6:7]
	v_add_f64 v[14:15], v[44:45], v[14:15]
	v_mul_f64 v[20:21], v[34:35], s[20:21]
	v_mul_f64 v[22:23], v[36:37], s[20:21]
	;; [unrolled: 1-line block ×6, first 2 shown]
	v_add_f64 v[0:1], v[4:5], v[16:17]
	v_add_f64 v[2:3], v[12:13], v[18:19]
	v_mul_f64 v[46:47], v[52:53], s[6:7]
	v_mul_f64 v[48:49], v[10:11], s[6:7]
	v_fma_f64 v[4:5], v[30:31], s[12:13], v[20:21]
	v_fma_f64 v[12:13], v[32:33], s[12:13], v[22:23]
	v_fma_f64 v[30:31], v[38:39], s[16:17], -v[34:35]
	v_fma_f64 v[32:33], v[40:41], s[16:17], -v[36:37]
	v_fma_f64 v[34:35], v[50:51], s[2:3], v[42:43]
	v_fma_f64 v[36:37], v[8:9], s[2:3], v[44:45]
	;; [unrolled: 1-line block ×4, first 2 shown]
	v_fma_f64 v[20:21], v[38:39], s[10:11], -v[20:21]
	v_fma_f64 v[22:23], v[40:41], s[10:11], -v[22:23]
	;; [unrolled: 1-line block ×6, first 2 shown]
	v_fma_f64 v[34:35], v[6:7], s[24:25], v[34:35]
	v_fma_f64 v[36:37], v[14:15], s[24:25], v[36:37]
	v_add_f64 v[46:47], v[4:5], v[16:17]
	v_add_f64 v[48:49], v[12:13], v[18:19]
	v_fma_f64 v[42:43], v[14:15], s[24:25], v[10:11]
	v_fma_f64 v[40:41], v[6:7], s[24:25], v[40:41]
	;; [unrolled: 1-line block ×3, first 2 shown]
	v_add_f64 v[12:13], v[30:31], v[16:17]
	v_add_f64 v[14:15], v[32:33], v[18:19]
	;; [unrolled: 1-line block ×4, first 2 shown]
	v_fma_f64 v[38:39], v[6:7], s[24:25], v[38:39]
	global_store_dwordx4 v[26:27], v[0:3], off
	v_add_co_u32_e32 v30, vcc, v28, v60
	v_add_f64 v[0:1], v[36:37], v[46:47]
	v_add_f64 v[2:3], v[48:49], -v[34:35]
	v_add_f64 v[4:5], v[44:45], v[16:17]
	v_add_f64 v[6:7], v[18:19], -v[40:41]
	v_add_f64 v[8:9], v[12:13], -v[42:43]
	v_add_f64 v[10:11], v[38:39], v[14:15]
	v_add_f64 v[16:17], v[16:17], -v[44:45]
	v_add_f64 v[18:19], v[40:41], v[18:19]
	v_add_f64 v[12:13], v[42:43], v[12:13]
	v_add_f64 v[14:15], v[14:15], -v[38:39]
	v_add_f64 v[20:21], v[46:47], -v[36:37]
	v_add_f64 v[22:23], v[34:35], v[48:49]
	v_addc_co_u32_e32 v31, vcc, v29, v61, vcc
	global_store_dwordx4 v[54:55], v[0:3], off
	global_store_dwordx4 v[56:57], v[4:7], off
	;; [unrolled: 1-line block ×4, first 2 shown]
	v_add_co_u32_e32 v0, vcc, v28, v62
	v_addc_co_u32_e32 v1, vcc, v29, v63, vcc
	global_store_dwordx4 v[0:1], v[16:19], off
	v_lshlrev_b64 v[0:1], 4, v[24:25]
	v_add_co_u32_e32 v0, vcc, v28, v0
	v_addc_co_u32_e32 v1, vcc, v29, v1, vcc
	global_store_dwordx4 v[0:1], v[20:23], off
.LBB0_20:
	s_endpgm
	.section	.rodata,"a",@progbits
	.p2align	6, 0x0
	.amdhsa_kernel fft_rtc_back_len1008_factors_2_2_2_2_3_3_7_wgs_56_tpt_56_halfLds_dp_op_CI_CI_unitstride_sbrr_dirReg
		.amdhsa_group_segment_fixed_size 0
		.amdhsa_private_segment_fixed_size 0
		.amdhsa_kernarg_size 104
		.amdhsa_user_sgpr_count 6
		.amdhsa_user_sgpr_private_segment_buffer 1
		.amdhsa_user_sgpr_dispatch_ptr 0
		.amdhsa_user_sgpr_queue_ptr 0
		.amdhsa_user_sgpr_kernarg_segment_ptr 1
		.amdhsa_user_sgpr_dispatch_id 0
		.amdhsa_user_sgpr_flat_scratch_init 0
		.amdhsa_user_sgpr_private_segment_size 0
		.amdhsa_uses_dynamic_stack 0
		.amdhsa_system_sgpr_private_segment_wavefront_offset 0
		.amdhsa_system_sgpr_workgroup_id_x 1
		.amdhsa_system_sgpr_workgroup_id_y 0
		.amdhsa_system_sgpr_workgroup_id_z 0
		.amdhsa_system_sgpr_workgroup_info 0
		.amdhsa_system_vgpr_workitem_id 0
		.amdhsa_next_free_vgpr 162
		.amdhsa_next_free_sgpr 28
		.amdhsa_reserve_vcc 1
		.amdhsa_reserve_flat_scratch 0
		.amdhsa_float_round_mode_32 0
		.amdhsa_float_round_mode_16_64 0
		.amdhsa_float_denorm_mode_32 3
		.amdhsa_float_denorm_mode_16_64 3
		.amdhsa_dx10_clamp 1
		.amdhsa_ieee_mode 1
		.amdhsa_fp16_overflow 0
		.amdhsa_exception_fp_ieee_invalid_op 0
		.amdhsa_exception_fp_denorm_src 0
		.amdhsa_exception_fp_ieee_div_zero 0
		.amdhsa_exception_fp_ieee_overflow 0
		.amdhsa_exception_fp_ieee_underflow 0
		.amdhsa_exception_fp_ieee_inexact 0
		.amdhsa_exception_int_div_zero 0
	.end_amdhsa_kernel
	.text
.Lfunc_end0:
	.size	fft_rtc_back_len1008_factors_2_2_2_2_3_3_7_wgs_56_tpt_56_halfLds_dp_op_CI_CI_unitstride_sbrr_dirReg, .Lfunc_end0-fft_rtc_back_len1008_factors_2_2_2_2_3_3_7_wgs_56_tpt_56_halfLds_dp_op_CI_CI_unitstride_sbrr_dirReg
                                        ; -- End function
	.section	.AMDGPU.csdata,"",@progbits
; Kernel info:
; codeLenInByte = 13152
; NumSgprs: 32
; NumVgprs: 162
; ScratchSize: 0
; MemoryBound: 1
; FloatMode: 240
; IeeeMode: 1
; LDSByteSize: 0 bytes/workgroup (compile time only)
; SGPRBlocks: 3
; VGPRBlocks: 40
; NumSGPRsForWavesPerEU: 32
; NumVGPRsForWavesPerEU: 162
; Occupancy: 1
; WaveLimiterHint : 1
; COMPUTE_PGM_RSRC2:SCRATCH_EN: 0
; COMPUTE_PGM_RSRC2:USER_SGPR: 6
; COMPUTE_PGM_RSRC2:TRAP_HANDLER: 0
; COMPUTE_PGM_RSRC2:TGID_X_EN: 1
; COMPUTE_PGM_RSRC2:TGID_Y_EN: 0
; COMPUTE_PGM_RSRC2:TGID_Z_EN: 0
; COMPUTE_PGM_RSRC2:TIDIG_COMP_CNT: 0
	.type	__hip_cuid_f97bbdc77e7a09c9,@object ; @__hip_cuid_f97bbdc77e7a09c9
	.section	.bss,"aw",@nobits
	.globl	__hip_cuid_f97bbdc77e7a09c9
__hip_cuid_f97bbdc77e7a09c9:
	.byte	0                               ; 0x0
	.size	__hip_cuid_f97bbdc77e7a09c9, 1

	.ident	"AMD clang version 19.0.0git (https://github.com/RadeonOpenCompute/llvm-project roc-6.4.0 25133 c7fe45cf4b819c5991fe208aaa96edf142730f1d)"
	.section	".note.GNU-stack","",@progbits
	.addrsig
	.addrsig_sym __hip_cuid_f97bbdc77e7a09c9
	.amdgpu_metadata
---
amdhsa.kernels:
  - .args:
      - .actual_access:  read_only
        .address_space:  global
        .offset:         0
        .size:           8
        .value_kind:     global_buffer
      - .offset:         8
        .size:           8
        .value_kind:     by_value
      - .actual_access:  read_only
        .address_space:  global
        .offset:         16
        .size:           8
        .value_kind:     global_buffer
      - .actual_access:  read_only
        .address_space:  global
        .offset:         24
        .size:           8
        .value_kind:     global_buffer
      - .actual_access:  read_only
        .address_space:  global
        .offset:         32
        .size:           8
        .value_kind:     global_buffer
      - .offset:         40
        .size:           8
        .value_kind:     by_value
      - .actual_access:  read_only
        .address_space:  global
        .offset:         48
        .size:           8
        .value_kind:     global_buffer
      - .actual_access:  read_only
        .address_space:  global
        .offset:         56
        .size:           8
        .value_kind:     global_buffer
      - .offset:         64
        .size:           4
        .value_kind:     by_value
      - .actual_access:  read_only
        .address_space:  global
        .offset:         72
        .size:           8
        .value_kind:     global_buffer
      - .actual_access:  read_only
        .address_space:  global
        .offset:         80
        .size:           8
        .value_kind:     global_buffer
      - .actual_access:  read_only
        .address_space:  global
        .offset:         88
        .size:           8
        .value_kind:     global_buffer
      - .actual_access:  write_only
        .address_space:  global
        .offset:         96
        .size:           8
        .value_kind:     global_buffer
    .group_segment_fixed_size: 0
    .kernarg_segment_align: 8
    .kernarg_segment_size: 104
    .language:       OpenCL C
    .language_version:
      - 2
      - 0
    .max_flat_workgroup_size: 56
    .name:           fft_rtc_back_len1008_factors_2_2_2_2_3_3_7_wgs_56_tpt_56_halfLds_dp_op_CI_CI_unitstride_sbrr_dirReg
    .private_segment_fixed_size: 0
    .sgpr_count:     32
    .sgpr_spill_count: 0
    .symbol:         fft_rtc_back_len1008_factors_2_2_2_2_3_3_7_wgs_56_tpt_56_halfLds_dp_op_CI_CI_unitstride_sbrr_dirReg.kd
    .uniform_work_group_size: 1
    .uses_dynamic_stack: false
    .vgpr_count:     162
    .vgpr_spill_count: 0
    .wavefront_size: 64
amdhsa.target:   amdgcn-amd-amdhsa--gfx906
amdhsa.version:
  - 1
  - 2
...

	.end_amdgpu_metadata
